;; amdgpu-corpus repo=ROCm/rocFFT kind=compiled arch=gfx1100 opt=O3
	.text
	.amdgcn_target "amdgcn-amd-amdhsa--gfx1100"
	.amdhsa_code_object_version 6
	.protected	fft_rtc_fwd_len864_factors_3_6_16_3_wgs_54_tpt_54_halfLds_half_ip_CI_unitstride_sbrr_R2C_dirReg ; -- Begin function fft_rtc_fwd_len864_factors_3_6_16_3_wgs_54_tpt_54_halfLds_half_ip_CI_unitstride_sbrr_R2C_dirReg
	.globl	fft_rtc_fwd_len864_factors_3_6_16_3_wgs_54_tpt_54_halfLds_half_ip_CI_unitstride_sbrr_R2C_dirReg
	.p2align	8
	.type	fft_rtc_fwd_len864_factors_3_6_16_3_wgs_54_tpt_54_halfLds_half_ip_CI_unitstride_sbrr_R2C_dirReg,@function
fft_rtc_fwd_len864_factors_3_6_16_3_wgs_54_tpt_54_halfLds_half_ip_CI_unitstride_sbrr_R2C_dirReg: ; @fft_rtc_fwd_len864_factors_3_6_16_3_wgs_54_tpt_54_halfLds_half_ip_CI_unitstride_sbrr_R2C_dirReg
; %bb.0:
	s_clause 0x2
	s_load_b128 s[4:7], s[0:1], 0x0
	s_load_b64 s[8:9], s[0:1], 0x50
	s_load_b64 s[10:11], s[0:1], 0x18
	v_mul_u32_u24_e32 v1, 0x4be, v0
	v_mov_b32_e32 v3, 0
	v_mov_b32_e32 v4, 0
	s_delay_alu instid0(VALU_DEP_3) | instskip(SKIP_1) | instid1(VALU_DEP_1)
	v_lshrrev_b32_e32 v2, 16, v1
	v_mov_b32_e32 v1, 0
	v_dual_mov_b32 v6, v1 :: v_dual_add_nc_u32 v5, s15, v2
	s_waitcnt lgkmcnt(0)
	v_cmp_lt_u64_e64 s2, s[6:7], 2
	s_delay_alu instid0(VALU_DEP_1)
	s_and_b32 vcc_lo, exec_lo, s2
	s_cbranch_vccnz .LBB0_8
; %bb.1:
	s_load_b64 s[2:3], s[0:1], 0x10
	v_mov_b32_e32 v3, 0
	s_add_u32 s12, s10, 8
	v_mov_b32_e32 v4, 0
	s_addc_u32 s13, s11, 0
	s_mov_b64 s[16:17], 1
	s_waitcnt lgkmcnt(0)
	s_add_u32 s14, s2, 8
	s_addc_u32 s15, s3, 0
.LBB0_2:                                ; =>This Inner Loop Header: Depth=1
	s_load_b64 s[18:19], s[14:15], 0x0
                                        ; implicit-def: $vgpr10_vgpr11
	s_mov_b32 s2, exec_lo
	s_waitcnt lgkmcnt(0)
	v_or_b32_e32 v2, s19, v6
	s_delay_alu instid0(VALU_DEP_1)
	v_cmpx_ne_u64_e32 0, v[1:2]
	s_xor_b32 s3, exec_lo, s2
	s_cbranch_execz .LBB0_4
; %bb.3:                                ;   in Loop: Header=BB0_2 Depth=1
	v_cvt_f32_u32_e32 v2, s18
	v_cvt_f32_u32_e32 v7, s19
	s_sub_u32 s2, 0, s18
	s_subb_u32 s20, 0, s19
	s_delay_alu instid0(VALU_DEP_1) | instskip(NEXT) | instid1(VALU_DEP_1)
	v_fmac_f32_e32 v2, 0x4f800000, v7
	v_rcp_f32_e32 v2, v2
	s_waitcnt_depctr 0xfff
	v_mul_f32_e32 v2, 0x5f7ffffc, v2
	s_delay_alu instid0(VALU_DEP_1) | instskip(NEXT) | instid1(VALU_DEP_1)
	v_mul_f32_e32 v7, 0x2f800000, v2
	v_trunc_f32_e32 v7, v7
	s_delay_alu instid0(VALU_DEP_1) | instskip(SKIP_1) | instid1(VALU_DEP_2)
	v_fmac_f32_e32 v2, 0xcf800000, v7
	v_cvt_u32_f32_e32 v7, v7
	v_cvt_u32_f32_e32 v2, v2
	s_delay_alu instid0(VALU_DEP_2) | instskip(NEXT) | instid1(VALU_DEP_2)
	v_mul_lo_u32 v8, s2, v7
	v_mul_hi_u32 v9, s2, v2
	v_mul_lo_u32 v10, s20, v2
	s_delay_alu instid0(VALU_DEP_2) | instskip(SKIP_1) | instid1(VALU_DEP_2)
	v_add_nc_u32_e32 v8, v9, v8
	v_mul_lo_u32 v9, s2, v2
	v_add_nc_u32_e32 v8, v8, v10
	s_delay_alu instid0(VALU_DEP_2) | instskip(NEXT) | instid1(VALU_DEP_2)
	v_mul_hi_u32 v10, v2, v9
	v_mul_lo_u32 v11, v2, v8
	v_mul_hi_u32 v12, v2, v8
	v_mul_hi_u32 v13, v7, v9
	v_mul_lo_u32 v9, v7, v9
	v_mul_hi_u32 v14, v7, v8
	v_mul_lo_u32 v8, v7, v8
	v_add_co_u32 v10, vcc_lo, v10, v11
	v_add_co_ci_u32_e32 v11, vcc_lo, 0, v12, vcc_lo
	s_delay_alu instid0(VALU_DEP_2) | instskip(NEXT) | instid1(VALU_DEP_2)
	v_add_co_u32 v9, vcc_lo, v10, v9
	v_add_co_ci_u32_e32 v9, vcc_lo, v11, v13, vcc_lo
	v_add_co_ci_u32_e32 v10, vcc_lo, 0, v14, vcc_lo
	s_delay_alu instid0(VALU_DEP_2) | instskip(NEXT) | instid1(VALU_DEP_2)
	v_add_co_u32 v8, vcc_lo, v9, v8
	v_add_co_ci_u32_e32 v9, vcc_lo, 0, v10, vcc_lo
	s_delay_alu instid0(VALU_DEP_2) | instskip(NEXT) | instid1(VALU_DEP_2)
	v_add_co_u32 v2, vcc_lo, v2, v8
	v_add_co_ci_u32_e32 v7, vcc_lo, v7, v9, vcc_lo
	s_delay_alu instid0(VALU_DEP_2) | instskip(SKIP_1) | instid1(VALU_DEP_3)
	v_mul_hi_u32 v8, s2, v2
	v_mul_lo_u32 v10, s20, v2
	v_mul_lo_u32 v9, s2, v7
	s_delay_alu instid0(VALU_DEP_1) | instskip(SKIP_1) | instid1(VALU_DEP_2)
	v_add_nc_u32_e32 v8, v8, v9
	v_mul_lo_u32 v9, s2, v2
	v_add_nc_u32_e32 v8, v8, v10
	s_delay_alu instid0(VALU_DEP_2) | instskip(NEXT) | instid1(VALU_DEP_2)
	v_mul_hi_u32 v10, v2, v9
	v_mul_lo_u32 v11, v2, v8
	v_mul_hi_u32 v12, v2, v8
	v_mul_hi_u32 v13, v7, v9
	v_mul_lo_u32 v9, v7, v9
	v_mul_hi_u32 v14, v7, v8
	v_mul_lo_u32 v8, v7, v8
	v_add_co_u32 v10, vcc_lo, v10, v11
	v_add_co_ci_u32_e32 v11, vcc_lo, 0, v12, vcc_lo
	s_delay_alu instid0(VALU_DEP_2) | instskip(NEXT) | instid1(VALU_DEP_2)
	v_add_co_u32 v9, vcc_lo, v10, v9
	v_add_co_ci_u32_e32 v9, vcc_lo, v11, v13, vcc_lo
	v_add_co_ci_u32_e32 v10, vcc_lo, 0, v14, vcc_lo
	s_delay_alu instid0(VALU_DEP_2) | instskip(NEXT) | instid1(VALU_DEP_2)
	v_add_co_u32 v8, vcc_lo, v9, v8
	v_add_co_ci_u32_e32 v9, vcc_lo, 0, v10, vcc_lo
	s_delay_alu instid0(VALU_DEP_2) | instskip(NEXT) | instid1(VALU_DEP_2)
	v_add_co_u32 v2, vcc_lo, v2, v8
	v_add_co_ci_u32_e32 v13, vcc_lo, v7, v9, vcc_lo
	s_delay_alu instid0(VALU_DEP_2) | instskip(SKIP_1) | instid1(VALU_DEP_3)
	v_mul_hi_u32 v14, v5, v2
	v_mad_u64_u32 v[9:10], null, v6, v2, 0
	v_mad_u64_u32 v[7:8], null, v5, v13, 0
	;; [unrolled: 1-line block ×3, first 2 shown]
	s_delay_alu instid0(VALU_DEP_2) | instskip(NEXT) | instid1(VALU_DEP_3)
	v_add_co_u32 v2, vcc_lo, v14, v7
	v_add_co_ci_u32_e32 v7, vcc_lo, 0, v8, vcc_lo
	s_delay_alu instid0(VALU_DEP_2) | instskip(NEXT) | instid1(VALU_DEP_2)
	v_add_co_u32 v2, vcc_lo, v2, v9
	v_add_co_ci_u32_e32 v2, vcc_lo, v7, v10, vcc_lo
	v_add_co_ci_u32_e32 v7, vcc_lo, 0, v12, vcc_lo
	s_delay_alu instid0(VALU_DEP_2) | instskip(NEXT) | instid1(VALU_DEP_2)
	v_add_co_u32 v2, vcc_lo, v2, v11
	v_add_co_ci_u32_e32 v9, vcc_lo, 0, v7, vcc_lo
	s_delay_alu instid0(VALU_DEP_2) | instskip(SKIP_1) | instid1(VALU_DEP_3)
	v_mul_lo_u32 v10, s19, v2
	v_mad_u64_u32 v[7:8], null, s18, v2, 0
	v_mul_lo_u32 v11, s18, v9
	s_delay_alu instid0(VALU_DEP_2) | instskip(NEXT) | instid1(VALU_DEP_2)
	v_sub_co_u32 v7, vcc_lo, v5, v7
	v_add3_u32 v8, v8, v11, v10
	s_delay_alu instid0(VALU_DEP_1) | instskip(NEXT) | instid1(VALU_DEP_1)
	v_sub_nc_u32_e32 v10, v6, v8
	v_subrev_co_ci_u32_e64 v10, s2, s19, v10, vcc_lo
	v_add_co_u32 v11, s2, v2, 2
	s_delay_alu instid0(VALU_DEP_1) | instskip(SKIP_3) | instid1(VALU_DEP_3)
	v_add_co_ci_u32_e64 v12, s2, 0, v9, s2
	v_sub_co_u32 v13, s2, v7, s18
	v_sub_co_ci_u32_e32 v8, vcc_lo, v6, v8, vcc_lo
	v_subrev_co_ci_u32_e64 v10, s2, 0, v10, s2
	v_cmp_le_u32_e32 vcc_lo, s18, v13
	s_delay_alu instid0(VALU_DEP_3) | instskip(SKIP_1) | instid1(VALU_DEP_4)
	v_cmp_eq_u32_e64 s2, s19, v8
	v_cndmask_b32_e64 v13, 0, -1, vcc_lo
	v_cmp_le_u32_e32 vcc_lo, s19, v10
	v_cndmask_b32_e64 v14, 0, -1, vcc_lo
	v_cmp_le_u32_e32 vcc_lo, s18, v7
	;; [unrolled: 2-line block ×3, first 2 shown]
	v_cndmask_b32_e64 v15, 0, -1, vcc_lo
	v_cmp_eq_u32_e32 vcc_lo, s19, v10
	s_delay_alu instid0(VALU_DEP_2) | instskip(SKIP_3) | instid1(VALU_DEP_3)
	v_cndmask_b32_e64 v7, v15, v7, s2
	v_cndmask_b32_e32 v10, v14, v13, vcc_lo
	v_add_co_u32 v13, vcc_lo, v2, 1
	v_add_co_ci_u32_e32 v14, vcc_lo, 0, v9, vcc_lo
	v_cmp_ne_u32_e32 vcc_lo, 0, v10
	s_delay_alu instid0(VALU_DEP_2) | instskip(NEXT) | instid1(VALU_DEP_4)
	v_cndmask_b32_e32 v8, v14, v12, vcc_lo
	v_cndmask_b32_e32 v10, v13, v11, vcc_lo
	v_cmp_ne_u32_e32 vcc_lo, 0, v7
	s_delay_alu instid0(VALU_DEP_2)
	v_dual_cndmask_b32 v11, v9, v8 :: v_dual_cndmask_b32 v10, v2, v10
.LBB0_4:                                ;   in Loop: Header=BB0_2 Depth=1
	s_and_not1_saveexec_b32 s2, s3
	s_cbranch_execz .LBB0_6
; %bb.5:                                ;   in Loop: Header=BB0_2 Depth=1
	v_cvt_f32_u32_e32 v2, s18
	s_sub_i32 s3, 0, s18
	v_mov_b32_e32 v11, v1
	s_delay_alu instid0(VALU_DEP_2) | instskip(SKIP_2) | instid1(VALU_DEP_1)
	v_rcp_iflag_f32_e32 v2, v2
	s_waitcnt_depctr 0xfff
	v_mul_f32_e32 v2, 0x4f7ffffe, v2
	v_cvt_u32_f32_e32 v2, v2
	s_delay_alu instid0(VALU_DEP_1) | instskip(NEXT) | instid1(VALU_DEP_1)
	v_mul_lo_u32 v7, s3, v2
	v_mul_hi_u32 v7, v2, v7
	s_delay_alu instid0(VALU_DEP_1) | instskip(NEXT) | instid1(VALU_DEP_1)
	v_add_nc_u32_e32 v2, v2, v7
	v_mul_hi_u32 v2, v5, v2
	s_delay_alu instid0(VALU_DEP_1) | instskip(SKIP_1) | instid1(VALU_DEP_2)
	v_mul_lo_u32 v7, v2, s18
	v_add_nc_u32_e32 v8, 1, v2
	v_sub_nc_u32_e32 v7, v5, v7
	s_delay_alu instid0(VALU_DEP_1) | instskip(SKIP_1) | instid1(VALU_DEP_2)
	v_subrev_nc_u32_e32 v9, s18, v7
	v_cmp_le_u32_e32 vcc_lo, s18, v7
	v_dual_cndmask_b32 v7, v7, v9 :: v_dual_cndmask_b32 v2, v2, v8
	s_delay_alu instid0(VALU_DEP_1) | instskip(NEXT) | instid1(VALU_DEP_2)
	v_cmp_le_u32_e32 vcc_lo, s18, v7
	v_add_nc_u32_e32 v8, 1, v2
	s_delay_alu instid0(VALU_DEP_1)
	v_cndmask_b32_e32 v10, v2, v8, vcc_lo
.LBB0_6:                                ;   in Loop: Header=BB0_2 Depth=1
	s_or_b32 exec_lo, exec_lo, s2
	s_load_b64 s[2:3], s[12:13], 0x0
	v_mul_lo_u32 v2, v11, s18
	s_delay_alu instid0(VALU_DEP_2)
	v_mul_lo_u32 v9, v10, s19
	v_mad_u64_u32 v[7:8], null, v10, s18, 0
	s_add_u32 s16, s16, 1
	s_addc_u32 s17, s17, 0
	s_add_u32 s12, s12, 8
	s_addc_u32 s13, s13, 0
	;; [unrolled: 2-line block ×3, first 2 shown]
	s_delay_alu instid0(VALU_DEP_1) | instskip(SKIP_1) | instid1(VALU_DEP_2)
	v_add3_u32 v2, v8, v9, v2
	v_sub_co_u32 v7, vcc_lo, v5, v7
	v_sub_co_ci_u32_e32 v2, vcc_lo, v6, v2, vcc_lo
	s_waitcnt lgkmcnt(0)
	s_delay_alu instid0(VALU_DEP_2) | instskip(NEXT) | instid1(VALU_DEP_2)
	v_mul_lo_u32 v8, s3, v7
	v_mul_lo_u32 v2, s2, v2
	v_mad_u64_u32 v[5:6], null, s2, v7, v[3:4]
	v_cmp_ge_u64_e64 s2, s[16:17], s[6:7]
	s_delay_alu instid0(VALU_DEP_1) | instskip(NEXT) | instid1(VALU_DEP_2)
	s_and_b32 vcc_lo, exec_lo, s2
	v_add3_u32 v4, v8, v6, v2
	s_delay_alu instid0(VALU_DEP_3)
	v_mov_b32_e32 v3, v5
	s_cbranch_vccnz .LBB0_9
; %bb.7:                                ;   in Loop: Header=BB0_2 Depth=1
	v_dual_mov_b32 v5, v10 :: v_dual_mov_b32 v6, v11
	s_branch .LBB0_2
.LBB0_8:
	v_dual_mov_b32 v11, v6 :: v_dual_mov_b32 v10, v5
.LBB0_9:
	s_lshl_b64 s[2:3], s[6:7], 3
	v_mul_hi_u32 v1, 0x4bda130, v0
	s_add_u32 s2, s10, s2
	s_addc_u32 s3, s11, s3
	s_load_b64 s[0:1], s[0:1], 0x20
	s_load_b64 s[2:3], s[2:3], 0x0
	s_delay_alu instid0(VALU_DEP_1) | instskip(NEXT) | instid1(VALU_DEP_1)
	v_mul_u32_u24_e32 v1, 54, v1
	v_sub_nc_u32_e32 v0, v0, v1
	s_delay_alu instid0(VALU_DEP_1)
	v_add_nc_u32_e32 v9, 0x6c, v0
	v_add_nc_u32_e32 v8, 0xa2, v0
	;; [unrolled: 1-line block ×3, first 2 shown]
	s_waitcnt lgkmcnt(0)
	v_cmp_gt_u64_e32 vcc_lo, s[0:1], v[10:11]
	v_mul_lo_u32 v5, s2, v11
	v_mul_lo_u32 v6, s3, v10
	v_mad_u64_u32 v[1:2], null, s2, v10, v[3:4]
	v_cmp_le_u64_e64 s0, s[0:1], v[10:11]
	v_add_nc_u32_e32 v4, 54, v0
	s_delay_alu instid0(VALU_DEP_3) | instskip(SKIP_1) | instid1(VALU_DEP_4)
	v_add3_u32 v2, v6, v2, v5
	v_add_nc_u32_e32 v6, 0x10e, v0
	s_and_saveexec_b32 s1, s0
	s_delay_alu instid0(SALU_CYCLE_1)
	s_xor_b32 s0, exec_lo, s1
; %bb.10:
	v_add_nc_u32_e32 v4, 54, v0
	v_add_nc_u32_e32 v9, 0x6c, v0
	;; [unrolled: 1-line block ×5, first 2 shown]
; %bb.11:
	s_or_saveexec_b32 s1, s0
	v_lshlrev_b64 v[2:3], 2, v[1:2]
	v_lshl_add_u32 v24, v0, 2, 0
	s_xor_b32 exec_lo, exec_lo, s1
	s_cbranch_execz .LBB0_13
; %bb.12:
	s_delay_alu instid0(VALU_DEP_1) | instskip(SKIP_2) | instid1(VALU_DEP_3)
	v_dual_mov_b32 v1, 0 :: v_dual_add_nc_u32 v26, 0x400, v24
	v_add_nc_u32_e32 v27, 0x800, v24
	v_add_nc_u32_e32 v28, 0xa00, v24
	v_lshlrev_b64 v[10:11], 2, v[0:1]
	v_add_co_u32 v1, s0, s8, v2
	s_delay_alu instid0(VALU_DEP_1) | instskip(NEXT) | instid1(VALU_DEP_2)
	v_add_co_ci_u32_e64 v5, s0, s9, v3, s0
	v_add_co_u32 v10, s0, v1, v10
	s_delay_alu instid0(VALU_DEP_1)
	v_add_co_ci_u32_e64 v11, s0, v5, v11, s0
	s_clause 0xf
	global_load_b32 v1, v[10:11], off
	global_load_b32 v5, v[10:11], off offset:216
	global_load_b32 v12, v[10:11], off offset:432
	;; [unrolled: 1-line block ×15, first 2 shown]
	v_add_nc_u32_e32 v11, 0x200, v24
	s_waitcnt vmcnt(14)
	ds_store_2addr_b32 v24, v1, v5 offset1:54
	s_waitcnt vmcnt(12)
	ds_store_2addr_b32 v24, v12, v13 offset0:108 offset1:162
	s_waitcnt vmcnt(10)
	ds_store_2addr_b32 v11, v14, v15 offset0:88 offset1:142
	;; [unrolled: 2-line block ×7, first 2 shown]
.LBB0_13:
	s_or_b32 exec_lo, exec_lo, s1
	s_delay_alu instid0(VALU_DEP_1)
	v_add_nc_u32_e32 v1, 0x200, v24
	v_add_nc_u32_e32 v16, 0x600, v24
	;; [unrolled: 1-line block ×3, first 2 shown]
	s_waitcnt lgkmcnt(0)
	s_barrier
	buffer_gl0_inv
	ds_load_2addr_b32 v[10:11], v1 offset0:88 offset1:142
	ds_load_2addr_b32 v[14:15], v16 offset0:120 offset1:174
	;; [unrolled: 1-line block ×3, first 2 shown]
	v_add_nc_u32_e32 v17, 0x400, v24
	v_add_nc_u32_e32 v29, 0x800, v24
	ds_load_2addr_b32 v[20:21], v24 offset0:108 offset1:162
	ds_load_2addr_b32 v[22:23], v17 offset0:140 offset1:194
	;; [unrolled: 1-line block ×4, first 2 shown]
	ds_load_2addr_b32 v[34:35], v24 offset1:54
	ds_load_2addr_b32 v[36:37], v29 offset0:172 offset1:226
	v_lshl_add_u32 v27, v0, 3, v24
	s_waitcnt lgkmcnt(0)
	s_barrier
	buffer_gl0_inv
	v_mad_i32_i24 v25, v4, 12, 0
	v_mad_i32_i24 v13, v9, 12, 0
	v_mad_i32_i24 v39, v8, 12, 0
	v_cmp_gt_u32_e64 s0, 18, v0
	v_pk_add_f16 v5, v10, v14
	v_pk_add_f16 v12, v14, v18
	;; [unrolled: 1-line block ×3, first 2 shown]
	v_pk_add_f16 v28, v15, v19 neg_lo:[0,1] neg_hi:[0,1]
	v_pk_add_f16 v15, v11, v15
	v_pk_add_f16 v14, v14, v18 neg_lo:[0,1] neg_hi:[0,1]
	v_pk_fma_f16 v10, v12, 0.5, v10 op_sel_hi:[1,0,1] neg_lo:[1,0,0] neg_hi:[1,0,0]
	v_pk_fma_f16 v11, v26, 0.5, v11 op_sel_hi:[1,0,1] neg_lo:[1,0,0] neg_hi:[1,0,0]
	v_pk_add_f16 v26, v5, v18
	v_pk_add_f16 v12, v15, v19
	;; [unrolled: 1-line block ×3, first 2 shown]
	v_pk_add_f16 v18, v30, v32 neg_lo:[0,1] neg_hi:[0,1]
	v_pk_add_f16 v30, v34, v30
	v_pk_add_f16 v40, v35, v31
	v_pk_mul_f16 v28, 0x3aee, v28 op_sel_hi:[0,1]
	v_pk_fma_f16 v15, v15, 0.5, v34 op_sel_hi:[1,0,1] neg_lo:[1,0,0] neg_hi:[1,0,0]
	v_pk_mul_f16 v18, 0x3aee, v18 op_sel_hi:[0,1]
	v_pk_add_f16 v30, v30, v32
	v_pk_add_f16 v19, v20, v22
	;; [unrolled: 1-line block ×3, first 2 shown]
	v_pk_add_f16 v5, v11, v28 op_sel:[0,1] op_sel_hi:[1,0] neg_lo:[0,1] neg_hi:[0,1]
	v_pk_add_f16 v32, v15, v18 op_sel:[0,1] op_sel_hi:[1,0]
	v_pk_add_f16 v15, v15, v18 op_sel:[0,1] op_sel_hi:[1,0] neg_lo:[0,1] neg_hi:[0,1]
	v_pk_add_f16 v18, v31, v33
	v_pk_add_f16 v31, v31, v33 neg_lo:[0,1] neg_hi:[0,1]
	v_pk_add_f16 v28, v28, v11 op_sel:[1,0] op_sel_hi:[0,1]
	v_pk_add_f16 v11, v21, v23
	v_bfi_b32 v40, 0xffff, v32, v15
	v_bfi_b32 v15, 0xffff, v15, v32
	v_pk_add_f16 v32, v22, v36
	v_pk_add_f16 v22, v22, v36 neg_lo:[0,1] neg_hi:[0,1]
	v_pk_fma_f16 v18, v18, 0.5, v35 op_sel_hi:[1,0,1] neg_lo:[1,0,0] neg_hi:[1,0,0]
	v_pk_mul_f16 v31, 0x3aee, v31 op_sel_hi:[0,1]
	ds_store_2addr_b32 v27, v30, v40 offset1:1
	ds_store_b32 v27, v15 offset:8
	v_pk_fma_f16 v15, v32, 0.5, v20 op_sel_hi:[1,0,1] neg_lo:[1,0,0] neg_hi:[1,0,0]
	v_pk_mul_f16 v20, 0x3aee, v22 op_sel_hi:[0,1]
	v_pk_add_f16 v27, v23, v37
	v_pk_add_f16 v23, v23, v37 neg_lo:[0,1] neg_hi:[0,1]
	v_pk_add_f16 v22, v18, v31 op_sel:[0,1] op_sel_hi:[1,0]
	v_pk_add_f16 v18, v18, v31 op_sel:[0,1] op_sel_hi:[1,0] neg_lo:[0,1] neg_hi:[0,1]
	v_pk_add_f16 v30, v15, v20 op_sel:[0,1] op_sel_hi:[1,0]
	v_pk_add_f16 v15, v15, v20 op_sel:[0,1] op_sel_hi:[1,0] neg_lo:[0,1] neg_hi:[0,1]
	v_pk_fma_f16 v20, v27, 0.5, v21 op_sel_hi:[1,0,1] neg_lo:[1,0,0] neg_hi:[1,0,0]
	v_pk_mul_f16 v21, 0x3aee, v23 op_sel_hi:[0,1]
	v_pk_mul_f16 v38, 0x3aee, v14 op_sel_hi:[0,1]
	v_bfi_b32 v23, 0xffff, v22, v18
	v_bfi_b32 v18, 0xffff, v18, v22
	;; [unrolled: 1-line block ×4, first 2 shown]
	v_pk_add_f16 v30, v20, v21 op_sel:[0,1] op_sel_hi:[1,0]
	v_pk_add_f16 v20, v20, v21 op_sel:[0,1] op_sel_hi:[1,0] neg_lo:[0,1] neg_hi:[0,1]
	v_pk_add_f16 v19, v19, v36
	v_pk_add_f16 v14, v10, v38 op_sel:[0,1] op_sel_hi:[1,0]
	v_pk_add_f16 v15, v10, v38 op_sel:[0,1] op_sel_hi:[1,0] neg_lo:[0,1] neg_hi:[0,1]
	v_pk_add_f16 v11, v11, v37
	v_bfi_b32 v10, 0xffff, v30, v20
	ds_store_2addr_b32 v25, v34, v23 offset1:1
	ds_store_b32 v25, v18 offset:8
	v_bfi_b32 v18, 0xffff, v20, v30
	ds_store_2addr_b32 v13, v19, v22 offset1:1
	ds_store_b32 v13, v27 offset:8
	v_mad_i32_i24 v19, v7, 12, 0
	v_bfi_b32 v20, 0xffff, v15, v14
	v_bfi_b32 v21, 0xffff, v14, v15
	ds_store_2addr_b32 v39, v11, v10 offset1:1
	ds_store_b32 v39, v18 offset:8
	ds_store_b32 v19, v26
	ds_store_2addr_b32 v19, v21, v20 offset0:1 offset1:2
	s_and_saveexec_b32 s1, s0
	s_cbranch_execz .LBB0_15
; %bb.14:
	v_mad_i32_i24 v10, v6, 12, 0
	v_bfi_b32 v11, 0xffff, v5, v28
	v_bfi_b32 v18, 0xffff, v28, v5
	ds_store_b32 v10, v12
	ds_store_2addr_b32 v10, v18, v11 offset0:1 offset1:2
.LBB0_15:
	s_or_b32 exec_lo, exec_lo, s1
	v_lshlrev_b32_e32 v27, 3, v4
	s_waitcnt lgkmcnt(0)
	s_barrier
	buffer_gl0_inv
	ds_load_2addr_b32 v[10:11], v24 offset1:144
	v_sub_nc_u32_e32 v30, v25, v27
	ds_load_2addr_b32 v[22:23], v1 offset0:70 offset1:160
	ds_load_2addr_b32 v[20:21], v17 offset0:86 offset1:176
	;; [unrolled: 1-line block ×4, first 2 shown]
	ds_load_b32 v1, v30
	ds_load_b32 v29, v24 offset:3096
	v_lshrrev_b32_e32 v32, 16, v14
	v_cmp_gt_u32_e64 s1, 36, v0
	v_lshrrev_b32_e32 v33, 16, v5
	v_lshrrev_b32_e32 v34, 16, v15
	s_delay_alu instid0(VALU_DEP_3)
	s_and_saveexec_b32 s2, s1
	s_cbranch_execz .LBB0_17
; %bb.16:
	v_lshlrev_b32_e32 v12, 3, v9
	v_add_nc_u32_e32 v5, 0x300, v24
	v_add_nc_u32_e32 v26, 0x800, v24
	s_delay_alu instid0(VALU_DEP_3)
	v_sub_nc_u32_e32 v28, v13, v12
	ds_load_2addr_b32 v[14:15], v5 offset0:60 offset1:204
	ds_load_2addr_b32 v[12:13], v26 offset0:28 offset1:172
	ds_load_b32 v5, v24 offset:3312
	ds_load_b32 v26, v28
	s_waitcnt lgkmcnt(3)
	v_lshrrev_b32_e32 v34, 16, v14
	v_lshrrev_b32_e32 v32, 16, v15
	s_waitcnt lgkmcnt(2)
	v_lshrrev_b32_e32 v33, 16, v13
	s_waitcnt lgkmcnt(1)
	v_bfi_b32 v28, 0xffff, v13, v5
.LBB0_17:
	s_or_b32 exec_lo, exec_lo, s2
	v_and_b32_e32 v13, 0xff, v0
	v_and_b32_e32 v30, 0xff, v4
	;; [unrolled: 1-line block ×3, first 2 shown]
	s_waitcnt lgkmcnt(4)
	v_lshrrev_b32_e32 v61, 16, v21
	s_waitcnt lgkmcnt(2)
	v_lshrrev_b32_e32 v63, 16, v17
	v_mul_lo_u16 v31, 0xab, v13
	v_mul_lo_u16 v30, 0xab, v30
	s_waitcnt lgkmcnt(0)
	v_lshrrev_b32_e32 v59, 16, v29
	v_lshrrev_b32_e32 v66, 16, v18
	v_lshrrev_b32_e32 v58, 16, v16
	v_lshrrev_b16 v36, 9, v31
	v_mul_lo_u16 v31, 0xab, v35
	v_lshrrev_b16 v35, 9, v30
	v_lshrrev_b32_e32 v60, 16, v23
	v_lshrrev_b32_e32 v62, 16, v19
	v_mul_lo_u16 v37, v36, 3
	v_lshrrev_b16 v30, 9, v31
	v_mul_lo_u16 v31, v35, 3
	v_and_b32_e32 v36, 0xffff, v36
	v_and_b32_e32 v35, 0xffff, v35
	v_sub_nc_u16 v37, v0, v37
	v_mul_lo_u16 v38, v30, 3
	v_sub_nc_u16 v31, v4, v31
	v_mul_u32_u24_e32 v36, 0x48, v36
	v_lshrrev_b32_e32 v64, 16, v22
	v_and_b32_e32 v37, 0xff, v37
	v_sub_nc_u16 v38, v9, v38
	v_and_b32_e32 v39, 0xff, v31
	v_lshrrev_b32_e32 v65, 16, v20
	v_lshrrev_b32_e32 v67, 16, v12
	v_mul_u32_u24_e32 v40, 5, v37
	v_and_b32_e32 v31, 0xff, v38
	v_mul_u32_u24_e32 v38, 5, v39
	v_lshlrev_b32_e32 v37, 2, v37
	v_lshlrev_b32_e32 v39, 2, v39
	;; [unrolled: 1-line block ×3, first 2 shown]
	v_mul_u32_u24_e32 v45, 5, v31
	v_lshlrev_b32_e32 v38, 2, v38
	v_add3_u32 v69, 0, v36, v37
	v_lshrrev_b32_e32 v68, 16, v28
	global_load_b128 v[41:44], v40, s[4:5]
	v_lshlrev_b32_e32 v53, 2, v45
	s_clause 0x4
	global_load_b32 v54, v40, s[4:5] offset:16
	global_load_b128 v[45:48], v38, s[4:5]
	global_load_b32 v55, v38, s[4:5] offset:16
	global_load_b128 v[49:52], v53, s[4:5]
	global_load_b32 v53, v53, s[4:5] offset:16
	v_mul_u32_u24_e32 v40, 0x48, v35
	v_lshrrev_b32_e32 v38, 16, v11
	v_lshrrev_b32_e32 v56, 16, v10
	;; [unrolled: 1-line block ×4, first 2 shown]
	v_add3_u32 v70, 0, v40, v39
	v_sub_nc_u32_e32 v27, 0, v27
	s_waitcnt vmcnt(0)
	s_barrier
	buffer_gl0_inv
	v_lshrrev_b32_e32 v71, 16, v54
	v_lshrrev_b32_e32 v36, 16, v41
	;; [unrolled: 1-line block ×14, first 2 shown]
	v_mul_f16_e32 v83, v36, v11
	v_mul_f16_e32 v85, v37, v23
	;; [unrolled: 1-line block ×6, first 2 shown]
	v_lshrrev_b32_e32 v80, 16, v52
	v_mul_f16_e32 v93, v74, v66
	v_mul_f16_e32 v74, v74, v18
	;; [unrolled: 1-line block ×19, first 2 shown]
	v_fmac_f16_e32 v83, v41, v38
	v_fmac_f16_e32 v85, v42, v60
	v_mul_f16_e32 v60, v68, v81
	v_mul_f16_e32 v38, v5, v81
	v_fma_f16 v21, v43, v21, -v86
	v_fmac_f16_e32 v87, v43, v61
	v_fma_f16 v17, v54, v17, -v90
	v_fmac_f16_e32 v71, v54, v63
	v_mul_f16_e32 v75, v16, v75
	v_mul_f16_e32 v79, v33, v80
	;; [unrolled: 1-line block ×3, first 2 shown]
	v_fma_f16 v18, v47, v18, -v93
	v_fmac_f16_e32 v74, v47, v66
	v_fma_f16 v29, v29, v55, -v95
	v_fmac_f16_e32 v76, v59, v55
	v_fma_f16 v41, v41, v11, -v82
	v_fma_f16 v23, v42, v23, -v84
	v_fma_f16 v19, v44, v19, -v88
	v_fmac_f16_e32 v89, v44, v62
	v_fma_f16 v42, v45, v22, -v91
	v_fmac_f16_e32 v72, v45, v64
	v_fma_f16 v20, v46, v20, -v92
	;; [unrolled: 2-line block ×3, first 2 shown]
	v_fma_f16 v16, v12, v51, -v78
	v_fmac_f16_e32 v40, v67, v51
	v_fma_f16 v12, v5, v53, -v60
	v_fmac_f16_e32 v38, v68, v53
	v_add_f16_e32 v44, v21, v17
	v_add_f16_e32 v47, v87, v71
	v_fmac_f16_e32 v75, v58, v48
	v_fma_f16 v15, v15, v50, -v77
	v_fmac_f16_e32 v39, v32, v50
	v_fma_f16 v11, v28, v52, -v79
	v_fmac_f16_e32 v37, v33, v52
	v_add_f16_e32 v54, v18, v29
	v_add_f16_e32 v59, v74, v76
	v_fma_f16 v14, v14, v49, -v96
	v_fmac_f16_e32 v36, v34, v49
	v_add_f16_e32 v5, v10, v23
	v_add_f16_e32 v28, v23, v19
	;; [unrolled: 1-line block ×5, first 2 shown]
	v_sub_f16_e32 v45, v87, v71
	v_add_f16_e32 v46, v83, v87
	v_sub_f16_e32 v21, v21, v17
	v_add_f16_e32 v49, v20, v22
	v_add_f16_e32 v51, v57, v73
	;; [unrolled: 1-line block ×5, first 2 shown]
	v_fmac_f16_e32 v41, -0.5, v44
	v_fmac_f16_e32 v83, -0.5, v47
	v_add_f16_e32 v52, v73, v75
	v_add_f16_e32 v53, v42, v18
	v_sub_f16_e32 v60, v18, v29
	v_add_f16_e32 v18, v15, v11
	v_add_f16_e32 v62, v39, v37
	v_sub_f16_e32 v55, v74, v76
	v_fmac_f16_e32 v42, -0.5, v54
	v_fmac_f16_e32 v72, -0.5, v59
	v_sub_f16_e32 v23, v23, v19
	v_add_f16_e32 v48, v1, v20
	v_sub_f16_e32 v65, v40, v38
	v_sub_f16_e32 v67, v16, v12
	v_add_f16_e32 v5, v5, v19
	v_fmac_f16_e32 v10, -0.5, v28
	v_add_f16_e32 v19, v33, v89
	v_fmac_f16_e32 v56, -0.5, v34
	v_add_f16_e32 v28, v43, v17
	v_add_f16_e32 v33, v46, v71
	v_fmac_f16_e32 v1, -0.5, v49
	v_add_f16_e32 v34, v51, v75
	v_add_f16_e32 v43, v58, v76
	v_fma_f16 v44, -0.5, v64, v14
	v_fma_f16 v46, -0.5, v66, v36
	v_fmamk_f16 v49, v45, 0x3aee, v41
	v_fmac_f16_e32 v41, 0xbaee, v45
	v_fmamk_f16 v45, v21, 0xbaee, v83
	v_sub_f16_e32 v50, v73, v75
	v_sub_f16_e32 v20, v20, v22
	;; [unrolled: 1-line block ×4, first 2 shown]
	v_fmac_f16_e32 v57, -0.5, v52
	v_fma_f16 v17, -0.5, v18, v26
	v_fma_f16 v18, -0.5, v62, v35
	v_fmac_f16_e32 v83, 0x3aee, v21
	v_add_f16_e32 v29, v53, v29
	v_fmamk_f16 v53, v55, 0x3aee, v42
	v_fmamk_f16 v54, v60, 0xbaee, v72
	v_fmac_f16_e32 v42, 0xbaee, v55
	v_fmac_f16_e32 v72, 0x3aee, v60
	v_sub_f16_e32 v32, v85, v89
	v_add_f16_e32 v22, v48, v22
	v_add_f16_e32 v58, v34, v43
	v_sub_f16_e32 v34, v34, v43
	v_fmamk_f16 v43, v65, 0x3aee, v44
	v_fmac_f16_e32 v44, 0xbaee, v65
	v_fmamk_f16 v59, v67, 0xbaee, v46
	v_fmac_f16_e32 v46, 0x3aee, v67
	v_mul_f16_e32 v60, 0x3aee, v45
	v_mul_f16_e32 v62, 0xbaee, v49
	v_add_f16_e32 v51, v5, v28
	v_add_f16_e32 v52, v19, v33
	v_sub_f16_e32 v5, v5, v28
	v_sub_f16_e32 v28, v19, v33
	v_fmamk_f16 v33, v50, 0x3aee, v1
	v_fmac_f16_e32 v1, 0xbaee, v50
	v_fmamk_f16 v50, v20, 0xbaee, v57
	v_fmac_f16_e32 v57, 0x3aee, v20
	;; [unrolled: 2-line block ×4, first 2 shown]
	v_mul_f16_e32 v61, -0.5, v41
	v_mul_f16_e32 v63, -0.5, v83
	v_mul_f16_e32 v64, 0x3aee, v54
	v_mul_f16_e32 v66, 0xbaee, v53
	v_mul_f16_e32 v65, -0.5, v42
	v_mul_f16_e32 v67, -0.5, v72
	v_fmamk_f16 v47, v32, 0x3aee, v10
	v_fmac_f16_e32 v10, 0xbaee, v32
	v_fmamk_f16 v48, v23, 0xbaee, v56
	v_fmac_f16_e32 v56, 0x3aee, v23
	v_add_f16_e32 v55, v22, v29
	v_sub_f16_e32 v29, v22, v29
	v_mul_f16_e32 v21, 0x3aee, v59
	v_mul_f16_e32 v22, -0.5, v44
	v_mul_f16_e32 v23, 0xbaee, v43
	v_mul_f16_e32 v32, -0.5, v46
	v_fmac_f16_e32 v60, 0.5, v49
	v_fmac_f16_e32 v62, 0.5, v45
	v_fmac_f16_e32 v61, 0x3aee, v83
	v_fmac_f16_e32 v63, 0xbaee, v41
	v_fmac_f16_e32 v64, 0.5, v53
	v_fmac_f16_e32 v66, 0.5, v54
	v_fmac_f16_e32 v65, 0x3aee, v72
	v_fmac_f16_e32 v67, 0xbaee, v42
	v_fmac_f16_e32 v21, 0.5, v43
	v_fmac_f16_e32 v22, 0x3aee, v46
	v_fmac_f16_e32 v23, 0.5, v59
	v_fmac_f16_e32 v32, 0xbaee, v44
	v_add_f16_e32 v41, v47, v60
	v_add_f16_e32 v43, v48, v62
	;; [unrolled: 1-line block ×4, first 2 shown]
	v_sub_f16_e32 v45, v47, v60
	v_sub_f16_e32 v10, v10, v61
	;; [unrolled: 1-line block ×4, first 2 shown]
	v_add_f16_e32 v48, v33, v64
	v_add_f16_e32 v53, v50, v66
	;; [unrolled: 1-line block ×4, first 2 shown]
	v_pack_b32_f16 v51, v51, v52
	v_pack_b32_f16 v52, v5, v28
	;; [unrolled: 1-line block ×3, first 2 shown]
	v_sub_f16_e32 v33, v33, v64
	v_sub_f16_e32 v56, v1, v65
	;; [unrolled: 1-line block ×8, first 2 shown]
	v_pack_b32_f16 v41, v41, v43
	v_pack_b32_f16 v42, v42, v44
	;; [unrolled: 1-line block ×9, first 2 shown]
	ds_store_2addr_b32 v69, v51, v41 offset1:3
	ds_store_2addr_b32 v69, v42, v52 offset0:6 offset1:9
	ds_store_2addr_b32 v69, v43, v10 offset0:12 offset1:15
	ds_store_2addr_b32 v70, v55, v44 offset1:3
	ds_store_2addr_b32 v70, v45, v34 offset0:6 offset1:9
	ds_store_2addr_b32 v70, v33, v46 offset0:12 offset1:15
	s_and_saveexec_b32 s2, s1
	s_cbranch_execz .LBB0_19
; %bb.18:
	v_add_f16_e32 v10, v35, v39
	v_add_f16_e32 v33, v36, v40
	;; [unrolled: 1-line block ×4, first 2 shown]
	v_and_b32_e32 v26, 0xffff, v30
	v_add_f16_e32 v10, v10, v37
	v_add_f16_e32 v16, v33, v38
	;; [unrolled: 1-line block ×5, first 2 shown]
	v_lshlrev_b32_e32 v20, 2, v31
	v_sub_f16_e32 v14, v10, v16
	v_add_f16_e32 v10, v10, v16
	v_mul_u32_u24_e32 v16, 0x48, v26
	v_add_f16_e32 v23, v11, v12
	v_add_f16_e32 v19, v19, v21
	;; [unrolled: 1-line block ×4, first 2 shown]
	v_sub_f16_e32 v11, v11, v12
	v_add3_u32 v12, 0, v16, v20
	v_pack_b32_f16 v10, v23, v10
	v_pack_b32_f16 v15, v19, v15
	;; [unrolled: 1-line block ×4, first 2 shown]
	v_perm_b32 v14, v28, v1, 0x5040100
	v_perm_b32 v17, v29, v5, 0x5040100
	ds_store_2addr_b32 v12, v10, v15 offset1:3
	ds_store_2addr_b32 v12, v16, v11 offset0:6 offset1:9
	ds_store_2addr_b32 v12, v14, v17 offset0:12 offset1:15
.LBB0_19:
	s_or_b32 exec_lo, exec_lo, s2
	v_mul_lo_u16 v10, v13, 57
	s_waitcnt lgkmcnt(0)
	s_barrier
	buffer_gl0_inv
	v_lshl_add_u32 v22, v6, 2, 0
	v_lshrrev_b16 v46, 10, v10
	v_add_nc_u32_e32 v11, 0x800, v24
	v_add_nc_u32_e32 v14, 0xa00, v24
	;; [unrolled: 1-line block ×3, first 2 shown]
	v_lshl_add_u32 v26, v9, 2, 0
	v_mul_lo_u16 v10, v46, 18
	v_lshl_add_u32 v25, v8, 2, 0
	v_lshl_add_u32 v23, v7, 2, 0
	v_and_b32_e32 v46, 0xffff, v46
	v_add_nc_u32_e32 v54, 0x600, v24
	v_sub_nc_u16 v10, v0, v10
	s_delay_alu instid0(VALU_DEP_3) | instskip(NEXT) | instid1(VALU_DEP_2)
	v_mul_u32_u24_e32 v46, 0x120, v46
	v_and_b32_e32 v47, 0xff, v10
	s_delay_alu instid0(VALU_DEP_1) | instskip(NEXT) | instid1(VALU_DEP_3)
	v_mul_u32_u24_e32 v10, 15, v47
	v_or_b32_e32 v46, v46, v47
	s_delay_alu instid0(VALU_DEP_2) | instskip(NEXT) | instid1(VALU_DEP_2)
	v_lshlrev_b32_e32 v10, 2, v10
	v_lshl_add_u32 v46, v46, 2, 0
	s_clause 0x3
	global_load_b128 v[15:18], v10, s[4:5] offset:60
	global_load_b128 v[30:33], v10, s[4:5] offset:76
	global_load_b128 v[34:37], v10, s[4:5] offset:92
	global_load_b96 v[19:21], v10, s[4:5] offset:108
	v_add_nc_u32_e32 v10, 0x400, v24
	ds_load_b32 v48, v24
	v_add_nc_u32_e32 v70, 0x200, v46
	ds_load_b32 v49, v22
	ds_load_2addr_b32 v[12:13], v10 offset0:68 offset1:122
	ds_load_2addr_b32 v[38:39], v10 offset0:176 offset1:230
	;; [unrolled: 1-line block ×5, first 2 shown]
	ds_load_b32 v50, v27
	ds_load_b32 v51, v26
	;; [unrolled: 1-line block ×4, first 2 shown]
	s_waitcnt vmcnt(0) lgkmcnt(0)
	s_barrier
	buffer_gl0_inv
	v_lshrrev_b32_e32 v55, 16, v48
	v_lshrrev_b32_e32 v56, 16, v49
	;; [unrolled: 1-line block ×31, first 2 shown]
	v_mul_f16_e32 v86, v71, v66
	v_mul_f16_e32 v71, v71, v50
	;; [unrolled: 1-line block ×16, first 2 shown]
	v_fma_f16 v50, v15, v50, -v86
	v_mul_f16_e32 v86, v60, v79
	v_mul_f16_e32 v79, v39, v79
	v_fmac_f16_e32 v71, v15, v66
	v_mul_f16_e32 v15, v61, v80
	v_mul_f16_e32 v66, v40, v80
	v_fma_f16 v51, v16, v51, -v87
	v_mul_f16_e32 v80, v62, v81
	v_mul_f16_e32 v81, v41, v81
	v_fmac_f16_e32 v72, v16, v67
	v_mul_f16_e32 v16, v63, v82
	v_mul_f16_e32 v67, v42, v82
	;; [unrolled: 6-line block ×3, first 2 shown]
	v_mul_f16_e32 v84, v47, v85
	v_mul_f16_e32 v85, v45, v85
	v_fma_f16 v53, v18, v53, -v89
	v_fmac_f16_e32 v74, v18, v69
	v_fma_f16 v18, v49, v30, -v90
	v_fmac_f16_e32 v75, v56, v30
	;; [unrolled: 2-line block ×12, first 2 shown]
	v_sub_f16_e32 v20, v48, v30
	v_sub_f16_e32 v21, v55, v78
	;; [unrolled: 1-line block ×16, first 2 shown]
	v_fma_f16 v40, v48, 2.0, -v20
	v_fma_f16 v41, v55, 2.0, -v21
	;; [unrolled: 1-line block ×16, first 2 shown]
	v_sub_f16_e32 v30, v20, v30
	v_add_f16_e32 v16, v21, v16
	v_sub_f16_e32 v35, v15, v35
	v_add_f16_e32 v17, v34, v17
	;; [unrolled: 2-line block ×4, first 2 shown]
	v_sub_f16_e32 v42, v40, v42
	v_sub_f16_e32 v43, v41, v43
	v_fma_f16 v20, v20, 2.0, -v30
	v_fma_f16 v21, v21, 2.0, -v16
	v_sub_f16_e32 v12, v44, v12
	v_sub_f16_e32 v47, v45, v47
	v_fma_f16 v15, v15, 2.0, -v35
	v_fma_f16 v34, v34, 2.0, -v17
	;; [unrolled: 4-line block ×4, first 2 shown]
	v_fmamk_f16 v53, v35, 0x39a8, v30
	v_fmamk_f16 v56, v17, 0x39a8, v16
	;; [unrolled: 1-line block ×4, first 2 shown]
	v_fma_f16 v40, v40, 2.0, -v42
	v_fma_f16 v41, v41, 2.0, -v43
	;; [unrolled: 1-line block ×8, first 2 shown]
	v_fmamk_f16 v59, v15, 0xb9a8, v20
	v_fmamk_f16 v60, v34, 0xb9a8, v21
	v_add_f16_e32 v12, v43, v12
	v_fmac_f16_e32 v53, 0xb9a8, v17
	v_fmac_f16_e32 v56, 0x39a8, v35
	v_fmamk_f16 v17, v32, 0xb9a8, v55
	v_fmamk_f16 v35, v38, 0xb9a8, v36
	v_sub_f16_e32 v47, v42, v47
	v_sub_f16_e32 v61, v18, v31
	v_add_f16_e32 v13, v50, v13
	v_fmac_f16_e32 v57, 0xb9a8, v19
	v_fmac_f16_e32 v58, 0x39a8, v39
	v_sub_f16_e32 v19, v40, v44
	v_sub_f16_e32 v39, v41, v45
	v_fmac_f16_e32 v59, 0xb9a8, v34
	v_fmac_f16_e32 v60, 0x39a8, v15
	v_fma_f16 v34, v43, 2.0, -v12
	v_sub_f16_e32 v43, v48, v51
	v_sub_f16_e32 v44, v49, v52
	v_fmac_f16_e32 v17, 0xb9a8, v38
	v_fmac_f16_e32 v35, 0x39a8, v32
	v_fma_f16 v15, v42, 2.0, -v47
	v_fma_f16 v42, v30, 2.0, -v53
	;; [unrolled: 1-line block ×7, first 2 shown]
	v_fmamk_f16 v38, v61, 0x39a8, v47
	v_fmamk_f16 v45, v13, 0x39a8, v12
	;; [unrolled: 1-line block ×4, first 2 shown]
	v_fma_f16 v40, v40, 2.0, -v19
	v_fma_f16 v41, v41, 2.0, -v39
	;; [unrolled: 1-line block ×8, first 2 shown]
	v_fmamk_f16 v51, v18, 0xb9a8, v15
	v_fmamk_f16 v52, v32, 0xb9a8, v34
	;; [unrolled: 1-line block ×6, first 2 shown]
	v_fmac_f16_e32 v38, 0xb9a8, v13
	v_fmac_f16_e32 v45, 0x39a8, v61
	;; [unrolled: 1-line block ×4, first 2 shown]
	v_sub_f16_e32 v13, v40, v48
	v_sub_f16_e32 v48, v41, v49
	v_fmamk_f16 v49, v50, 0xbb64, v20
	v_fmamk_f16 v57, v36, 0xbb64, v21
	v_sub_f16_e32 v44, v19, v44
	v_add_f16_e32 v43, v39, v43
	v_fmac_f16_e32 v51, 0xb9a8, v32
	v_fmac_f16_e32 v52, 0x39a8, v18
	v_fmac_f16_e32 v55, 0xbb64, v33
	v_fmac_f16_e32 v62, 0x3b64, v37
	v_fmac_f16_e32 v63, 0xbb64, v35
	v_fmac_f16_e32 v64, 0x3b64, v17
	v_fma_f16 v17, v47, 2.0, -v38
	v_fma_f16 v12, v12, 2.0, -v45
	;; [unrolled: 1-line block ×4, first 2 shown]
	v_fmac_f16_e32 v49, 0xb61f, v36
	v_fmac_f16_e32 v57, 0x361f, v50
	v_fma_f16 v18, v19, 2.0, -v44
	v_fma_f16 v19, v39, 2.0, -v43
	;; [unrolled: 1-line block ×10, first 2 shown]
	v_pack_b32_f16 v12, v17, v12
	v_pack_b32_f16 v17, v32, v33
	;; [unrolled: 1-line block ×4, first 2 shown]
	v_fma_f16 v20, v20, 2.0, -v49
	v_fma_f16 v21, v21, 2.0, -v57
	v_pack_b32_f16 v35, v44, v43
	v_pack_b32_f16 v18, v18, v19
	;; [unrolled: 1-line block ×9, first 2 shown]
	ds_store_2addr_b32 v46, v12, v17 offset0:108 offset1:126
	v_pack_b32_f16 v12, v49, v57
	ds_store_2addr_b32 v70, v37, v38 offset0:124 offset1:142
	v_pack_b32_f16 v37, v39, v40
	v_pack_b32_f16 v17, v20, v21
	ds_store_2addr_b32 v46, v19, v32 offset0:180 offset1:198
	ds_store_2addr_b32 v46, v35, v33 offset0:216 offset1:234
	;; [unrolled: 1-line block ×5, first 2 shown]
	ds_store_2addr_b32 v46, v37, v17 offset1:18
	s_waitcnt lgkmcnt(0)
	s_barrier
	buffer_gl0_inv
	ds_load_2addr_b32 v[20:21], v10 offset0:32 offset1:86
	ds_load_2addr_b32 v[12:13], v54 offset0:120 offset1:192
	;; [unrolled: 1-line block ×4, first 2 shown]
	ds_load_b32 v34, v26
	ds_load_b32 v33, v25
	ds_load_2addr_b32 v[14:15], v14 offset0:98 offset1:152
	ds_load_b32 v36, v24
	ds_load_b32 v35, v27
	ds_load_b32 v32, v23
	s_and_saveexec_b32 s1, s0
	s_cbranch_execz .LBB0_21
; %bb.20:
	ds_load_b32 v30, v22
	ds_load_b32 v1, v24 offset:2232
	ds_load_b32 v5, v24 offset:3384
	s_waitcnt lgkmcnt(2)
	v_lshrrev_b32_e32 v31, 16, v30
	s_waitcnt lgkmcnt(1)
	v_lshrrev_b32_e32 v28, 16, v1
	;; [unrolled: 2-line block ×3, first 2 shown]
.LBB0_21:
	s_or_b32 exec_lo, exec_lo, s1
	v_dual_mov_b32 v11, 0 :: v_dual_lshlrev_b32 v10, 1, v0
	s_waitcnt lgkmcnt(8)
	v_lshrrev_b32_e32 v59, 16, v13
	v_lshrrev_b32_e32 v60, 16, v20
	s_waitcnt lgkmcnt(7)
	v_lshrrev_b32_e32 v57, 16, v18
	v_lshrrev_b32_e32 v58, 16, v21
	v_lshlrev_b64 v[37:38], 2, v[10:11]
	v_lshlrev_b32_e32 v10, 1, v4
	v_lshrrev_b32_e32 v55, 16, v19
	s_waitcnt lgkmcnt(6)
	v_lshrrev_b32_e32 v56, 16, v16
	s_waitcnt lgkmcnt(3)
	v_lshrrev_b32_e32 v50, 16, v14
	v_lshrrev_b32_e32 v54, 16, v17
	v_lshlrev_b64 v[39:40], 2, v[10:11]
	v_lshlrev_b32_e32 v10, 1, v9
	v_add_co_u32 v37, s1, s4, v37
	s_delay_alu instid0(VALU_DEP_1) | instskip(NEXT) | instid1(VALU_DEP_3)
	v_add_co_ci_u32_e64 v38, s1, s5, v38, s1
	v_lshlrev_b64 v[41:42], 2, v[10:11]
	v_lshlrev_b32_e32 v10, 1, v8
	v_add_co_u32 v39, s1, s4, v39
	global_load_b64 v[37:38], v[37:38], off offset:1140
	v_add_co_ci_u32_e64 v40, s1, s5, v40, s1
	v_lshlrev_b64 v[43:44], 2, v[10:11]
	v_lshlrev_b32_e32 v10, 1, v7
	v_add_co_u32 v41, s1, s4, v41
	global_load_b64 v[39:40], v[39:40], off offset:1140
	v_add_co_ci_u32_e64 v42, s1, s5, v42, s1
	v_lshlrev_b64 v[45:46], 2, v[10:11]
	v_add_co_u32 v43, s1, s4, v43
	global_load_b64 v[41:42], v[41:42], off offset:1140
	v_add_co_ci_u32_e64 v44, s1, s5, v44, s1
	v_add_co_u32 v45, s1, s4, v45
	s_delay_alu instid0(VALU_DEP_1)
	v_add_co_ci_u32_e64 v46, s1, s5, v46, s1
	global_load_b64 v[43:44], v[43:44], off offset:1140
	s_waitcnt lgkmcnt(2)
	v_lshrrev_b32_e32 v10, 16, v36
	s_waitcnt lgkmcnt(1)
	v_lshrrev_b32_e32 v47, 16, v35
	global_load_b64 v[45:46], v[45:46], off offset:1140
	v_lshrrev_b32_e32 v48, 16, v34
	v_lshrrev_b32_e32 v52, 16, v12
	v_lshrrev_b32_e32 v53, 16, v15
	v_lshrrev_b32_e32 v49, 16, v33
	s_waitcnt lgkmcnt(0)
	v_lshrrev_b32_e32 v51, 16, v32
	s_waitcnt vmcnt(0)
	s_barrier
	buffer_gl0_inv
	v_lshrrev_b32_e32 v61, 16, v37
	v_lshrrev_b32_e32 v62, 16, v38
	s_delay_alu instid0(VALU_DEP_2) | instskip(SKIP_1) | instid1(VALU_DEP_3)
	v_mul_f16_e32 v63, v61, v60
	v_mul_f16_e32 v61, v61, v20
	;; [unrolled: 1-line block ×4, first 2 shown]
	v_lshrrev_b32_e32 v65, 16, v39
	v_lshrrev_b32_e32 v66, 16, v40
	v_fma_f16 v20, v37, v20, -v63
	v_fmac_f16_e32 v61, v37, v60
	v_fma_f16 v13, v38, v13, -v64
	v_fmac_f16_e32 v62, v38, v59
	v_mul_f16_e32 v37, v65, v58
	v_mul_f16_e32 v38, v65, v21
	;; [unrolled: 1-line block ×4, first 2 shown]
	v_lshrrev_b32_e32 v63, 16, v41
	v_lshrrev_b32_e32 v64, 16, v42
	v_fma_f16 v21, v39, v21, -v37
	v_fmac_f16_e32 v38, v39, v58
	v_fma_f16 v18, v40, v18, -v59
	v_fmac_f16_e32 v60, v40, v57
	v_mul_f16_e32 v37, v63, v56
	v_mul_f16_e32 v39, v63, v16
	v_mul_f16_e32 v40, v64, v55
	v_mul_f16_e32 v57, v64, v19
	v_lshrrev_b32_e32 v58, 16, v43
	v_lshrrev_b32_e32 v59, 16, v44
	v_add_f16_e32 v63, v36, v20
	v_sub_f16_e32 v65, v61, v62
	v_add_f16_e32 v66, v10, v61
	v_add_f16_e32 v61, v61, v62
	;; [unrolled: 1-line block ×3, first 2 shown]
	v_fma_f16 v16, v41, v16, -v37
	v_fmac_f16_e32 v39, v41, v56
	v_fma_f16 v19, v42, v19, -v40
	v_fmac_f16_e32 v57, v42, v55
	v_mul_f16_e32 v37, v58, v54
	v_mul_f16_e32 v40, v58, v17
	;; [unrolled: 1-line block ×4, first 2 shown]
	v_lshrrev_b32_e32 v55, 16, v45
	v_lshrrev_b32_e32 v56, 16, v46
	v_add_f16_e32 v59, v35, v21
	v_sub_f16_e32 v20, v20, v13
	v_add_f16_e32 v13, v63, v13
	v_add_f16_e32 v58, v66, v62
	v_fmac_f16_e32 v10, -0.5, v61
	v_add_f16_e32 v61, v21, v18
	v_sub_f16_e32 v62, v38, v60
	v_add_f16_e32 v63, v47, v38
	v_add_f16_e32 v38, v38, v60
	v_fmac_f16_e32 v36, -0.5, v64
	v_sub_f16_e32 v21, v21, v18
	v_fma_f16 v17, v43, v17, -v37
	v_fmac_f16_e32 v40, v43, v54
	v_fma_f16 v14, v14, v44, -v41
	v_fmac_f16_e32 v42, v50, v44
	v_mul_f16_e32 v37, v52, v55
	v_mul_f16_e32 v41, v12, v55
	;; [unrolled: 1-line block ×4, first 2 shown]
	v_add_f16_e32 v18, v59, v18
	v_sub_f16_e32 v56, v39, v57
	v_add_f16_e32 v59, v48, v39
	v_add_f16_e32 v39, v39, v57
	;; [unrolled: 1-line block ×3, first 2 shown]
	v_fmac_f16_e32 v35, -0.5, v61
	v_fmac_f16_e32 v47, -0.5, v38
	v_add_f16_e32 v38, v34, v16
	v_fmamk_f16 v50, v65, 0x3aee, v36
	v_fmac_f16_e32 v36, 0xbaee, v65
	v_fmamk_f16 v54, v20, 0xbaee, v10
	v_fmac_f16_e32 v10, 0x3aee, v20
	v_sub_f16_e32 v16, v16, v19
	v_fma_f16 v12, v12, v45, -v37
	v_fmac_f16_e32 v41, v52, v45
	v_fma_f16 v15, v15, v46, -v43
	v_fmac_f16_e32 v44, v53, v46
	v_fmac_f16_e32 v48, -0.5, v39
	v_add_f16_e32 v39, v17, v14
	v_sub_f16_e32 v45, v40, v42
	v_add_f16_e32 v46, v49, v40
	v_add_f16_e32 v40, v40, v42
	;; [unrolled: 1-line block ×3, first 2 shown]
	v_fmac_f16_e32 v34, -0.5, v55
	v_pack_b32_f16 v13, v13, v58
	v_fmamk_f16 v37, v62, 0x3aee, v35
	v_fmamk_f16 v43, v21, 0xbaee, v47
	v_add_f16_e32 v19, v38, v19
	v_add_f16_e32 v38, v33, v17
	v_fmac_f16_e32 v35, 0xbaee, v62
	v_fmac_f16_e32 v47, 0x3aee, v21
	v_pack_b32_f16 v50, v50, v54
	v_pack_b32_f16 v10, v36, v10
	v_fmamk_f16 v36, v16, 0xbaee, v48
	v_fmac_f16_e32 v48, 0x3aee, v16
	v_fmac_f16_e32 v33, -0.5, v39
	v_add_f16_e32 v16, v46, v42
	v_fmac_f16_e32 v49, -0.5, v40
	v_add_f16_e32 v39, v12, v15
	v_sub_f16_e32 v40, v41, v44
	v_add_f16_e32 v42, v51, v41
	v_add_f16_e32 v41, v41, v44
	;; [unrolled: 1-line block ×3, first 2 shown]
	v_sub_f16_e32 v17, v17, v14
	v_pack_b32_f16 v18, v18, v20
	v_fmamk_f16 v20, v56, 0x3aee, v34
	v_fmac_f16_e32 v34, 0xbaee, v56
	v_add_f16_e32 v14, v38, v14
	v_add_f16_e32 v38, v32, v12
	ds_store_b32 v24, v13
	ds_store_b32 v24, v50 offset:1152
	ds_store_b32 v24, v10 offset:2304
	v_pack_b32_f16 v10, v37, v43
	v_sub_f16_e32 v12, v12, v15
	v_pack_b32_f16 v13, v35, v47
	v_fmac_f16_e32 v32, -0.5, v39
	v_fmac_f16_e32 v51, -0.5, v41
	v_pack_b32_f16 v19, v19, v21
	v_fmamk_f16 v21, v45, 0x3aee, v33
	v_fmamk_f16 v35, v17, 0xbaee, v49
	v_fmac_f16_e32 v33, 0xbaee, v45
	v_fmac_f16_e32 v49, 0x3aee, v17
	ds_store_b32 v27, v18
	ds_store_b32 v27, v10 offset:1152
	ds_store_b32 v27, v13 offset:2304
	v_pack_b32_f16 v10, v20, v36
	v_add_f16_e32 v15, v38, v15
	v_add_f16_e32 v17, v42, v44
	v_pack_b32_f16 v13, v34, v48
	v_pack_b32_f16 v14, v14, v16
	v_fmamk_f16 v16, v40, 0x3aee, v32
	v_fmamk_f16 v18, v12, 0xbaee, v51
	v_fmac_f16_e32 v32, 0xbaee, v40
	v_fmac_f16_e32 v51, 0x3aee, v12
	ds_store_b32 v26, v19
	ds_store_b32 v26, v10 offset:1152
	ds_store_b32 v26, v13 offset:2304
	v_pack_b32_f16 v10, v21, v35
	v_pack_b32_f16 v12, v33, v49
	;; [unrolled: 1-line block ×5, first 2 shown]
	ds_store_b32 v25, v14
	ds_store_b32 v25, v10 offset:1152
	ds_store_b32 v25, v12 offset:2304
	ds_store_b32 v23, v13
	ds_store_b32 v23, v15 offset:1152
	ds_store_b32 v23, v16 offset:2304
	s_and_saveexec_b32 s1, s0
	s_cbranch_execz .LBB0_23
; %bb.22:
	v_subrev_nc_u32_e32 v10, 18, v0
	s_delay_alu instid0(VALU_DEP_1) | instskip(NEXT) | instid1(VALU_DEP_1)
	v_cndmask_b32_e64 v10, v10, v6, s0
	v_lshlrev_b32_e32 v10, 1, v10
	s_delay_alu instid0(VALU_DEP_1) | instskip(NEXT) | instid1(VALU_DEP_1)
	v_lshlrev_b64 v[10:11], 2, v[10:11]
	v_add_co_u32 v10, s0, s4, v10
	s_delay_alu instid0(VALU_DEP_1) | instskip(SKIP_4) | instid1(VALU_DEP_2)
	v_add_co_ci_u32_e64 v11, s0, s5, v11, s0
	global_load_b64 v[10:11], v[10:11], off offset:1140
	s_waitcnt vmcnt(0)
	v_lshrrev_b32_e32 v12, 16, v11
	v_lshrrev_b32_e32 v13, 16, v10
	v_mul_f16_e32 v14, v5, v12
	s_delay_alu instid0(VALU_DEP_2) | instskip(SKIP_2) | instid1(VALU_DEP_4)
	v_mul_f16_e32 v15, v1, v13
	v_mul_f16_e32 v13, v28, v13
	;; [unrolled: 1-line block ×3, first 2 shown]
	v_fmac_f16_e32 v14, v29, v11
	s_delay_alu instid0(VALU_DEP_4) | instskip(NEXT) | instid1(VALU_DEP_4)
	v_fmac_f16_e32 v15, v28, v10
	v_fma_f16 v1, v1, v10, -v13
	s_delay_alu instid0(VALU_DEP_4) | instskip(NEXT) | instid1(VALU_DEP_3)
	v_fma_f16 v5, v5, v11, -v12
	v_add_f16_e32 v10, v15, v14
	v_add_f16_e32 v11, v31, v15
	s_delay_alu instid0(VALU_DEP_3)
	v_add_f16_e32 v12, v1, v5
	v_add_f16_e32 v13, v30, v1
	v_sub_f16_e32 v1, v1, v5
	v_fmac_f16_e32 v31, -0.5, v10
	v_sub_f16_e32 v10, v15, v14
	v_fmac_f16_e32 v30, -0.5, v12
	v_add_f16_e32 v11, v11, v14
	v_add_f16_e32 v5, v13, v5
	v_fmamk_f16 v12, v1, 0x3aee, v31
	v_fmac_f16_e32 v31, 0xbaee, v1
	v_fmamk_f16 v1, v10, 0xbaee, v30
	v_fmac_f16_e32 v30, 0x3aee, v10
	v_pack_b32_f16 v5, v5, v11
	s_delay_alu instid0(VALU_DEP_3) | instskip(NEXT) | instid1(VALU_DEP_3)
	v_pack_b32_f16 v1, v1, v12
	v_pack_b32_f16 v10, v30, v31
	ds_store_b32 v24, v5 offset:1080
	ds_store_b32 v24, v10 offset:2232
	;; [unrolled: 1-line block ×3, first 2 shown]
.LBB0_23:
	s_or_b32 exec_lo, exec_lo, s1
	s_waitcnt lgkmcnt(0)
	s_barrier
	buffer_gl0_inv
	ds_load_b32 v5, v24
	v_lshlrev_b32_e32 v1, 2, v0
	s_mov_b32 s1, exec_lo
                                        ; implicit-def: $vgpr16
                                        ; implicit-def: $vgpr14
                                        ; implicit-def: $vgpr15
                                        ; implicit-def: $vgpr11_vgpr12
	s_delay_alu instid0(VALU_DEP_1)
	v_sub_nc_u32_e32 v13, 0, v1
	v_cmpx_ne_u32_e32 0, v0
	s_xor_b32 s1, exec_lo, s1
	s_cbranch_execz .LBB0_25
; %bb.24:
	v_mov_b32_e32 v1, 0
	s_delay_alu instid0(VALU_DEP_1) | instskip(NEXT) | instid1(VALU_DEP_1)
	v_lshlrev_b64 v[10:11], 2, v[0:1]
	v_add_co_u32 v10, s0, s4, v10
	s_delay_alu instid0(VALU_DEP_1)
	v_add_co_ci_u32_e64 v11, s0, s5, v11, s0
	global_load_b32 v10, v[10:11], off offset:3444
	ds_load_b32 v11, v13 offset:3456
	s_waitcnt lgkmcnt(0)
	v_pk_add_f16 v12, v5, v11 neg_lo:[0,1] neg_hi:[0,1]
	v_pk_add_f16 v5, v11, v5
	s_delay_alu instid0(VALU_DEP_1) | instskip(SKIP_1) | instid1(VALU_DEP_2)
	v_bfi_b32 v11, 0xffff, v12, v5
	v_bfi_b32 v5, 0xffff, v5, v12
	v_pk_mul_f16 v11, v11, 0.5 op_sel_hi:[1,0]
	s_delay_alu instid0(VALU_DEP_2) | instskip(SKIP_1) | instid1(VALU_DEP_2)
	v_pk_mul_f16 v14, v5, 0.5 op_sel_hi:[1,0]
	s_waitcnt vmcnt(0)
	v_pk_mul_f16 v12, v10, v11 op_sel:[1,0]
	v_pk_mul_f16 v10, v10, v11 op_sel_hi:[0,1]
	s_delay_alu instid0(VALU_DEP_3) | instskip(NEXT) | instid1(VALU_DEP_3)
	v_lshrrev_b32_e32 v11, 16, v14
	v_pk_fma_f16 v5, v5, 0.5, v12 op_sel_hi:[1,0,1]
	v_lshrrev_b32_e32 v15, 16, v12
	v_sub_f16_e32 v12, v14, v12
	v_lshrrev_b32_e32 v14, 16, v10
	s_delay_alu instid0(VALU_DEP_4) | instskip(SKIP_2) | instid1(VALU_DEP_4)
	v_pk_add_f16 v16, v5, v10 op_sel:[0,1] op_sel_hi:[1,0]
	v_pk_add_f16 v5, v5, v10 op_sel:[0,1] op_sel_hi:[1,0] neg_lo:[0,1] neg_hi:[0,1]
	v_sub_f16_e32 v11, v15, v11
	v_sub_f16_e32 v14, v12, v14
	s_delay_alu instid0(VALU_DEP_3) | instskip(NEXT) | instid1(VALU_DEP_3)
	v_bfi_b32 v16, 0xffff, v16, v5
	v_sub_f16_e32 v15, v11, v10
	v_dual_mov_b32 v12, v1 :: v_dual_mov_b32 v11, v0
                                        ; implicit-def: $vgpr5
.LBB0_25:
	s_and_not1_saveexec_b32 s0, s1
	s_cbranch_execz .LBB0_27
; %bb.26:
	s_waitcnt lgkmcnt(0)
	v_lshrrev_b32_e32 v11, 16, v5
	v_mov_b32_e32 v15, 0
	v_alignbit_b32 v10, s0, v5, 16
	s_delay_alu instid0(VALU_DEP_3) | instskip(SKIP_4) | instid1(VALU_DEP_1)
	v_sub_f16_e32 v14, v5, v11
	v_mov_b32_e32 v11, 0
	v_mov_b32_e32 v12, 0
	ds_load_u16 v1, v15 offset:1730
	v_pk_add_f16 v10, v10, v5
	v_pack_b32_f16 v16, v10, 0
	s_waitcnt lgkmcnt(0)
	v_xor_b32_e32 v1, 0x8000, v1
	ds_store_b16 v15, v1 offset:1730
.LBB0_27:
	s_or_b32 exec_lo, exec_lo, s0
	s_waitcnt lgkmcnt(0)
	v_mov_b32_e32 v5, 0
	s_delay_alu instid0(VALU_DEP_1) | instskip(SKIP_1) | instid1(VALU_DEP_1)
	v_lshlrev_b64 v[17:18], 2, v[4:5]
	v_mov_b32_e32 v10, v5
	v_lshlrev_b64 v[9:10], 2, v[9:10]
	s_delay_alu instid0(VALU_DEP_3) | instskip(NEXT) | instid1(VALU_DEP_1)
	v_add_co_u32 v17, s0, s4, v17
	v_add_co_ci_u32_e64 v18, s0, s5, v18, s0
	s_delay_alu instid0(VALU_DEP_3) | instskip(SKIP_4) | instid1(VALU_DEP_1)
	v_add_co_u32 v9, s0, s4, v9
	global_load_b32 v1, v[17:18], off offset:3444
	v_add_co_ci_u32_e64 v10, s0, s5, v10, s0
	global_load_b32 v10, v[9:10], off offset:3444
	v_mov_b32_e32 v9, v5
	v_lshlrev_b64 v[8:9], 2, v[8:9]
	s_delay_alu instid0(VALU_DEP_1) | instskip(NEXT) | instid1(VALU_DEP_1)
	v_add_co_u32 v8, s0, s4, v8
	v_add_co_ci_u32_e64 v9, s0, s5, v9, s0
	global_load_b32 v9, v[8:9], off offset:3444
	v_mov_b32_e32 v8, v5
	s_delay_alu instid0(VALU_DEP_1) | instskip(NEXT) | instid1(VALU_DEP_1)
	v_lshlrev_b64 v[7:8], 2, v[7:8]
	v_add_co_u32 v7, s0, s4, v7
	s_delay_alu instid0(VALU_DEP_1) | instskip(SKIP_2) | instid1(VALU_DEP_1)
	v_add_co_ci_u32_e64 v8, s0, s5, v8, s0
	global_load_b32 v8, v[7:8], off offset:3444
	v_mov_b32_e32 v7, v5
	v_lshlrev_b64 v[4:5], 2, v[6:7]
	s_delay_alu instid0(VALU_DEP_1) | instskip(NEXT) | instid1(VALU_DEP_1)
	v_add_co_u32 v4, s0, s4, v4
	v_add_co_ci_u32_e64 v5, s0, s5, v5, s0
	s_add_u32 s0, s4, 0xd74
	s_addc_u32 s1, s5, 0
	global_load_b32 v17, v[4:5], off offset:3444
	v_lshlrev_b64 v[4:5], 2, v[11:12]
	ds_store_b16 v13, v15 offset:3458
	ds_store_b32 v24, v16
	ds_store_b16 v13, v14 offset:3456
	ds_load_b32 v11, v27
	ds_load_b32 v12, v13 offset:3240
	v_add_co_u32 v6, s0, s0, v4
	s_delay_alu instid0(VALU_DEP_1)
	v_add_co_ci_u32_e64 v7, s0, s1, v5, s0
	s_clause 0x1
	global_load_b32 v14, v[6:7], off offset:1296
	global_load_b32 v6, v[6:7], off offset:1512
	s_waitcnt lgkmcnt(0)
	v_pk_add_f16 v15, v11, v12 neg_lo:[0,1] neg_hi:[0,1]
	v_pk_add_f16 v11, v11, v12
	s_delay_alu instid0(VALU_DEP_1) | instskip(SKIP_1) | instid1(VALU_DEP_2)
	v_bfi_b32 v12, 0xffff, v15, v11
	v_bfi_b32 v11, 0xffff, v11, v15
	v_pk_mul_f16 v12, v12, 0.5 op_sel_hi:[1,0]
	s_delay_alu instid0(VALU_DEP_2) | instskip(SKIP_1) | instid1(VALU_DEP_1)
	v_pk_mul_f16 v11, v11, 0.5 op_sel_hi:[1,0]
	s_waitcnt vmcnt(6)
	v_pk_fma_f16 v7, v1, v12, v11 op_sel:[1,0,0]
	v_pk_mul_f16 v15, v1, v12 op_sel_hi:[0,1]
	v_pk_fma_f16 v16, v1, v12, v11 op_sel:[1,0,0] neg_lo:[1,0,0] neg_hi:[1,0,0]
	v_pk_fma_f16 v1, v1, v12, v11 op_sel:[1,0,0] neg_lo:[0,0,1] neg_hi:[0,0,1]
	s_delay_alu instid0(VALU_DEP_3) | instskip(SKIP_1) | instid1(VALU_DEP_4)
	v_pk_add_f16 v11, v7, v15 op_sel:[0,1] op_sel_hi:[1,0]
	v_pk_add_f16 v7, v7, v15 op_sel:[0,1] op_sel_hi:[1,0] neg_lo:[0,1] neg_hi:[0,1]
	v_pk_add_f16 v12, v16, v15 op_sel:[0,1] op_sel_hi:[1,0] neg_lo:[0,1] neg_hi:[0,1]
	s_delay_alu instid0(VALU_DEP_4) | instskip(NEXT) | instid1(VALU_DEP_3)
	v_pk_add_f16 v1, v1, v15 op_sel:[0,1] op_sel_hi:[1,0] neg_lo:[0,1] neg_hi:[0,1]
	v_bfi_b32 v7, 0xffff, v11, v7
	s_delay_alu instid0(VALU_DEP_2)
	v_bfi_b32 v1, 0xffff, v12, v1
	ds_store_b32 v27, v7
	ds_store_b32 v13, v1 offset:3240
	ds_load_b32 v1, v26
	ds_load_b32 v7, v13 offset:3024
	s_waitcnt lgkmcnt(0)
	v_pk_add_f16 v11, v1, v7 neg_lo:[0,1] neg_hi:[0,1]
	v_pk_add_f16 v1, v1, v7
	s_delay_alu instid0(VALU_DEP_1) | instskip(SKIP_1) | instid1(VALU_DEP_2)
	v_bfi_b32 v7, 0xffff, v11, v1
	v_bfi_b32 v1, 0xffff, v1, v11
	v_pk_mul_f16 v7, v7, 0.5 op_sel_hi:[1,0]
	s_delay_alu instid0(VALU_DEP_2) | instskip(SKIP_1) | instid1(VALU_DEP_2)
	v_pk_mul_f16 v1, v1, 0.5 op_sel_hi:[1,0]
	s_waitcnt vmcnt(5)
	v_pk_mul_f16 v12, v10, v7 op_sel_hi:[0,1]
	s_delay_alu instid0(VALU_DEP_2) | instskip(SKIP_2) | instid1(VALU_DEP_3)
	v_pk_fma_f16 v11, v10, v7, v1 op_sel:[1,0,0]
	v_pk_fma_f16 v15, v10, v7, v1 op_sel:[1,0,0] neg_lo:[1,0,0] neg_hi:[1,0,0]
	v_pk_fma_f16 v1, v10, v7, v1 op_sel:[1,0,0] neg_lo:[0,0,1] neg_hi:[0,0,1]
	v_pk_add_f16 v7, v11, v12 op_sel:[0,1] op_sel_hi:[1,0]
	v_pk_add_f16 v10, v11, v12 op_sel:[0,1] op_sel_hi:[1,0] neg_lo:[0,1] neg_hi:[0,1]
	s_delay_alu instid0(VALU_DEP_4) | instskip(NEXT) | instid1(VALU_DEP_4)
	v_pk_add_f16 v11, v15, v12 op_sel:[0,1] op_sel_hi:[1,0] neg_lo:[0,1] neg_hi:[0,1]
	v_pk_add_f16 v1, v1, v12 op_sel:[0,1] op_sel_hi:[1,0] neg_lo:[0,1] neg_hi:[0,1]
	s_delay_alu instid0(VALU_DEP_3) | instskip(NEXT) | instid1(VALU_DEP_2)
	v_bfi_b32 v7, 0xffff, v7, v10
	v_bfi_b32 v1, 0xffff, v11, v1
	ds_store_b32 v26, v7
	ds_store_b32 v13, v1 offset:3024
	ds_load_b32 v1, v25
	ds_load_b32 v7, v13 offset:2808
	s_waitcnt lgkmcnt(0)
	v_pk_add_f16 v10, v1, v7 neg_lo:[0,1] neg_hi:[0,1]
	v_pk_add_f16 v1, v1, v7
	s_delay_alu instid0(VALU_DEP_1) | instskip(SKIP_1) | instid1(VALU_DEP_2)
	v_bfi_b32 v7, 0xffff, v10, v1
	v_bfi_b32 v1, 0xffff, v1, v10
	v_pk_mul_f16 v7, v7, 0.5 op_sel_hi:[1,0]
	s_delay_alu instid0(VALU_DEP_2) | instskip(SKIP_1) | instid1(VALU_DEP_2)
	v_pk_mul_f16 v1, v1, 0.5 op_sel_hi:[1,0]
	s_waitcnt vmcnt(4)
	v_pk_mul_f16 v11, v9, v7 op_sel_hi:[0,1]
	s_delay_alu instid0(VALU_DEP_2) | instskip(SKIP_2) | instid1(VALU_DEP_3)
	v_pk_fma_f16 v10, v9, v7, v1 op_sel:[1,0,0]
	v_pk_fma_f16 v12, v9, v7, v1 op_sel:[1,0,0] neg_lo:[1,0,0] neg_hi:[1,0,0]
	v_pk_fma_f16 v1, v9, v7, v1 op_sel:[1,0,0] neg_lo:[0,0,1] neg_hi:[0,0,1]
	v_pk_add_f16 v7, v10, v11 op_sel:[0,1] op_sel_hi:[1,0]
	v_pk_add_f16 v9, v10, v11 op_sel:[0,1] op_sel_hi:[1,0] neg_lo:[0,1] neg_hi:[0,1]
	s_delay_alu instid0(VALU_DEP_4) | instskip(NEXT) | instid1(VALU_DEP_4)
	v_pk_add_f16 v10, v12, v11 op_sel:[0,1] op_sel_hi:[1,0] neg_lo:[0,1] neg_hi:[0,1]
	v_pk_add_f16 v1, v1, v11 op_sel:[0,1] op_sel_hi:[1,0] neg_lo:[0,1] neg_hi:[0,1]
	s_delay_alu instid0(VALU_DEP_3) | instskip(NEXT) | instid1(VALU_DEP_2)
	v_bfi_b32 v7, 0xffff, v7, v9
	v_bfi_b32 v1, 0xffff, v10, v1
	ds_store_b32 v25, v7
	ds_store_b32 v13, v1 offset:2808
	ds_load_b32 v1, v23
	ds_load_b32 v7, v13 offset:2592
	s_waitcnt lgkmcnt(0)
	v_pk_add_f16 v9, v1, v7 neg_lo:[0,1] neg_hi:[0,1]
	v_pk_add_f16 v1, v1, v7
	s_delay_alu instid0(VALU_DEP_1) | instskip(SKIP_1) | instid1(VALU_DEP_2)
	v_bfi_b32 v7, 0xffff, v9, v1
	v_bfi_b32 v1, 0xffff, v1, v9
	v_pk_mul_f16 v7, v7, 0.5 op_sel_hi:[1,0]
	s_delay_alu instid0(VALU_DEP_2) | instskip(SKIP_1) | instid1(VALU_DEP_2)
	v_pk_mul_f16 v1, v1, 0.5 op_sel_hi:[1,0]
	s_waitcnt vmcnt(3)
	v_pk_mul_f16 v10, v8, v7 op_sel_hi:[0,1]
	s_delay_alu instid0(VALU_DEP_2) | instskip(SKIP_2) | instid1(VALU_DEP_3)
	v_pk_fma_f16 v9, v8, v7, v1 op_sel:[1,0,0]
	v_pk_fma_f16 v11, v8, v7, v1 op_sel:[1,0,0] neg_lo:[1,0,0] neg_hi:[1,0,0]
	v_pk_fma_f16 v1, v8, v7, v1 op_sel:[1,0,0] neg_lo:[0,0,1] neg_hi:[0,0,1]
	v_pk_add_f16 v7, v9, v10 op_sel:[0,1] op_sel_hi:[1,0]
	v_pk_add_f16 v8, v9, v10 op_sel:[0,1] op_sel_hi:[1,0] neg_lo:[0,1] neg_hi:[0,1]
	s_delay_alu instid0(VALU_DEP_4) | instskip(NEXT) | instid1(VALU_DEP_4)
	v_pk_add_f16 v9, v11, v10 op_sel:[0,1] op_sel_hi:[1,0] neg_lo:[0,1] neg_hi:[0,1]
	v_pk_add_f16 v1, v1, v10 op_sel:[0,1] op_sel_hi:[1,0] neg_lo:[0,1] neg_hi:[0,1]
	s_delay_alu instid0(VALU_DEP_3) | instskip(NEXT) | instid1(VALU_DEP_2)
	v_bfi_b32 v7, 0xffff, v7, v8
	v_bfi_b32 v1, 0xffff, v9, v1
	ds_store_b32 v23, v7
	ds_store_b32 v13, v1 offset:2592
	ds_load_b32 v1, v22
	ds_load_b32 v7, v13 offset:2376
	s_waitcnt lgkmcnt(0)
	v_pk_add_f16 v8, v1, v7 neg_lo:[0,1] neg_hi:[0,1]
	v_pk_add_f16 v1, v1, v7
	s_delay_alu instid0(VALU_DEP_1) | instskip(SKIP_1) | instid1(VALU_DEP_2)
	v_bfi_b32 v7, 0xffff, v8, v1
	v_bfi_b32 v1, 0xffff, v1, v8
	v_pk_mul_f16 v7, v7, 0.5 op_sel_hi:[1,0]
	s_delay_alu instid0(VALU_DEP_2) | instskip(SKIP_1) | instid1(VALU_DEP_2)
	v_pk_mul_f16 v1, v1, 0.5 op_sel_hi:[1,0]
	s_waitcnt vmcnt(2)
	v_pk_mul_f16 v9, v17, v7 op_sel_hi:[0,1]
	s_delay_alu instid0(VALU_DEP_2) | instskip(SKIP_2) | instid1(VALU_DEP_3)
	v_pk_fma_f16 v8, v17, v7, v1 op_sel:[1,0,0]
	v_pk_fma_f16 v10, v17, v7, v1 op_sel:[1,0,0] neg_lo:[1,0,0] neg_hi:[1,0,0]
	v_pk_fma_f16 v1, v17, v7, v1 op_sel:[1,0,0] neg_lo:[0,0,1] neg_hi:[0,0,1]
	v_pk_add_f16 v7, v8, v9 op_sel:[0,1] op_sel_hi:[1,0]
	v_pk_add_f16 v8, v8, v9 op_sel:[0,1] op_sel_hi:[1,0] neg_lo:[0,1] neg_hi:[0,1]
	s_delay_alu instid0(VALU_DEP_4) | instskip(NEXT) | instid1(VALU_DEP_4)
	v_pk_add_f16 v10, v10, v9 op_sel:[0,1] op_sel_hi:[1,0] neg_lo:[0,1] neg_hi:[0,1]
	v_pk_add_f16 v1, v1, v9 op_sel:[0,1] op_sel_hi:[1,0] neg_lo:[0,1] neg_hi:[0,1]
	s_delay_alu instid0(VALU_DEP_3) | instskip(NEXT) | instid1(VALU_DEP_2)
	v_bfi_b32 v7, 0xffff, v7, v8
	v_bfi_b32 v1, 0xffff, v10, v1
	ds_store_b32 v22, v7
	ds_store_b32 v13, v1 offset:2376
	ds_load_b32 v1, v24 offset:1296
	ds_load_b32 v7, v13 offset:2160
	s_waitcnt lgkmcnt(0)
	v_pk_add_f16 v8, v1, v7 neg_lo:[0,1] neg_hi:[0,1]
	v_pk_add_f16 v1, v1, v7
	s_delay_alu instid0(VALU_DEP_1) | instskip(SKIP_1) | instid1(VALU_DEP_2)
	v_bfi_b32 v7, 0xffff, v8, v1
	v_bfi_b32 v1, 0xffff, v1, v8
	v_pk_mul_f16 v7, v7, 0.5 op_sel_hi:[1,0]
	s_delay_alu instid0(VALU_DEP_2) | instskip(SKIP_1) | instid1(VALU_DEP_2)
	v_pk_mul_f16 v1, v1, 0.5 op_sel_hi:[1,0]
	s_waitcnt vmcnt(1)
	v_pk_mul_f16 v9, v14, v7 op_sel_hi:[0,1]
	s_delay_alu instid0(VALU_DEP_2) | instskip(SKIP_2) | instid1(VALU_DEP_3)
	v_pk_fma_f16 v8, v14, v7, v1 op_sel:[1,0,0]
	v_pk_fma_f16 v10, v14, v7, v1 op_sel:[1,0,0] neg_lo:[1,0,0] neg_hi:[1,0,0]
	v_pk_fma_f16 v1, v14, v7, v1 op_sel:[1,0,0] neg_lo:[0,0,1] neg_hi:[0,0,1]
	v_pk_add_f16 v7, v8, v9 op_sel:[0,1] op_sel_hi:[1,0]
	v_pk_add_f16 v8, v8, v9 op_sel:[0,1] op_sel_hi:[1,0] neg_lo:[0,1] neg_hi:[0,1]
	s_delay_alu instid0(VALU_DEP_4) | instskip(NEXT) | instid1(VALU_DEP_4)
	v_pk_add_f16 v10, v10, v9 op_sel:[0,1] op_sel_hi:[1,0] neg_lo:[0,1] neg_hi:[0,1]
	v_pk_add_f16 v1, v1, v9 op_sel:[0,1] op_sel_hi:[1,0] neg_lo:[0,1] neg_hi:[0,1]
	s_delay_alu instid0(VALU_DEP_3) | instskip(NEXT) | instid1(VALU_DEP_2)
	v_bfi_b32 v7, 0xffff, v7, v8
	v_bfi_b32 v1, 0xffff, v10, v1
	ds_store_b32 v24, v7 offset:1296
	ds_store_b32 v13, v1 offset:2160
	ds_load_b32 v1, v24 offset:1512
	ds_load_b32 v7, v13 offset:1944
	s_waitcnt lgkmcnt(0)
	v_pk_add_f16 v8, v1, v7 neg_lo:[0,1] neg_hi:[0,1]
	v_pk_add_f16 v1, v1, v7
	s_delay_alu instid0(VALU_DEP_1) | instskip(SKIP_1) | instid1(VALU_DEP_2)
	v_bfi_b32 v7, 0xffff, v8, v1
	v_bfi_b32 v1, 0xffff, v1, v8
	v_pk_mul_f16 v7, v7, 0.5 op_sel_hi:[1,0]
	s_delay_alu instid0(VALU_DEP_2) | instskip(SKIP_1) | instid1(VALU_DEP_2)
	v_pk_mul_f16 v1, v1, 0.5 op_sel_hi:[1,0]
	s_waitcnt vmcnt(0)
	v_pk_mul_f16 v9, v6, v7 op_sel_hi:[0,1]
	s_delay_alu instid0(VALU_DEP_2) | instskip(SKIP_2) | instid1(VALU_DEP_3)
	v_pk_fma_f16 v8, v6, v7, v1 op_sel:[1,0,0]
	v_pk_fma_f16 v10, v6, v7, v1 op_sel:[1,0,0] neg_lo:[1,0,0] neg_hi:[1,0,0]
	v_pk_fma_f16 v1, v6, v7, v1 op_sel:[1,0,0] neg_lo:[0,0,1] neg_hi:[0,0,1]
	v_pk_add_f16 v6, v8, v9 op_sel:[0,1] op_sel_hi:[1,0]
	v_pk_add_f16 v7, v8, v9 op_sel:[0,1] op_sel_hi:[1,0] neg_lo:[0,1] neg_hi:[0,1]
	s_delay_alu instid0(VALU_DEP_4) | instskip(NEXT) | instid1(VALU_DEP_4)
	v_pk_add_f16 v8, v10, v9 op_sel:[0,1] op_sel_hi:[1,0] neg_lo:[0,1] neg_hi:[0,1]
	v_pk_add_f16 v1, v1, v9 op_sel:[0,1] op_sel_hi:[1,0] neg_lo:[0,1] neg_hi:[0,1]
	s_delay_alu instid0(VALU_DEP_3) | instskip(NEXT) | instid1(VALU_DEP_2)
	v_bfi_b32 v6, 0xffff, v6, v7
	v_bfi_b32 v1, 0xffff, v8, v1
	ds_store_b32 v24, v6 offset:1512
	ds_store_b32 v13, v1 offset:1944
	s_waitcnt lgkmcnt(0)
	s_barrier
	buffer_gl0_inv
	s_and_saveexec_b32 s0, vcc_lo
	s_cbranch_execz .LBB0_30
; %bb.28:
	v_add_nc_u32_e32 v14, 0x400, v24
	v_add_nc_u32_e32 v18, 0x800, v24
	v_add_nc_u32_e32 v1, 0x200, v24
	v_add_nc_u32_e32 v20, 0xa00, v24
	ds_load_2addr_b32 v[6:7], v24 offset1:54
	ds_load_2addr_b32 v[8:9], v24 offset0:108 offset1:162
	ds_load_2addr_b32 v[10:11], v1 offset0:88 offset1:142
	ds_load_2addr_b32 v[12:13], v14 offset0:68 offset1:122
	ds_load_2addr_b32 v[14:15], v14 offset0:176 offset1:230
	ds_load_2addr_b32 v[16:17], v18 offset0:28 offset1:82
	ds_load_2addr_b32 v[18:19], v18 offset0:136 offset1:190
	ds_load_2addr_b32 v[20:21], v20 offset0:116 offset1:170
	v_add_co_u32 v1, vcc_lo, s8, v2
	v_add_co_ci_u32_e32 v2, vcc_lo, s9, v3, vcc_lo
	s_delay_alu instid0(VALU_DEP_2) | instskip(NEXT) | instid1(VALU_DEP_2)
	v_add_co_u32 v3, vcc_lo, v1, v4
	v_add_co_ci_u32_e32 v4, vcc_lo, v2, v5, vcc_lo
	v_cmp_eq_u32_e32 vcc_lo, 53, v0
	s_waitcnt lgkmcnt(7)
	s_clause 0x1
	global_store_b32 v[3:4], v6, off
	global_store_b32 v[3:4], v7, off offset:216
	s_waitcnt lgkmcnt(6)
	s_clause 0x1
	global_store_b32 v[3:4], v8, off offset:432
	global_store_b32 v[3:4], v9, off offset:648
	s_waitcnt lgkmcnt(5)
	s_clause 0x1
	global_store_b32 v[3:4], v10, off offset:864
	;; [unrolled: 4-line block ×7, first 2 shown]
	global_store_b32 v[3:4], v21, off offset:3240
	s_and_b32 exec_lo, exec_lo, vcc_lo
	s_cbranch_execz .LBB0_30
; %bb.29:
	v_mov_b32_e32 v0, 0
	ds_load_b32 v0, v0 offset:3456
	s_waitcnt lgkmcnt(0)
	global_store_b32 v[1:2], v0, off offset:3456
.LBB0_30:
	s_nop 0
	s_sendmsg sendmsg(MSG_DEALLOC_VGPRS)
	s_endpgm
	.section	.rodata,"a",@progbits
	.p2align	6, 0x0
	.amdhsa_kernel fft_rtc_fwd_len864_factors_3_6_16_3_wgs_54_tpt_54_halfLds_half_ip_CI_unitstride_sbrr_R2C_dirReg
		.amdhsa_group_segment_fixed_size 0
		.amdhsa_private_segment_fixed_size 0
		.amdhsa_kernarg_size 88
		.amdhsa_user_sgpr_count 15
		.amdhsa_user_sgpr_dispatch_ptr 0
		.amdhsa_user_sgpr_queue_ptr 0
		.amdhsa_user_sgpr_kernarg_segment_ptr 1
		.amdhsa_user_sgpr_dispatch_id 0
		.amdhsa_user_sgpr_private_segment_size 0
		.amdhsa_wavefront_size32 1
		.amdhsa_uses_dynamic_stack 0
		.amdhsa_enable_private_segment 0
		.amdhsa_system_sgpr_workgroup_id_x 1
		.amdhsa_system_sgpr_workgroup_id_y 0
		.amdhsa_system_sgpr_workgroup_id_z 0
		.amdhsa_system_sgpr_workgroup_info 0
		.amdhsa_system_vgpr_workitem_id 0
		.amdhsa_next_free_vgpr 97
		.amdhsa_next_free_sgpr 21
		.amdhsa_reserve_vcc 1
		.amdhsa_float_round_mode_32 0
		.amdhsa_float_round_mode_16_64 0
		.amdhsa_float_denorm_mode_32 3
		.amdhsa_float_denorm_mode_16_64 3
		.amdhsa_dx10_clamp 1
		.amdhsa_ieee_mode 1
		.amdhsa_fp16_overflow 0
		.amdhsa_workgroup_processor_mode 1
		.amdhsa_memory_ordered 1
		.amdhsa_forward_progress 0
		.amdhsa_shared_vgpr_count 0
		.amdhsa_exception_fp_ieee_invalid_op 0
		.amdhsa_exception_fp_denorm_src 0
		.amdhsa_exception_fp_ieee_div_zero 0
		.amdhsa_exception_fp_ieee_overflow 0
		.amdhsa_exception_fp_ieee_underflow 0
		.amdhsa_exception_fp_ieee_inexact 0
		.amdhsa_exception_int_div_zero 0
	.end_amdhsa_kernel
	.text
.Lfunc_end0:
	.size	fft_rtc_fwd_len864_factors_3_6_16_3_wgs_54_tpt_54_halfLds_half_ip_CI_unitstride_sbrr_R2C_dirReg, .Lfunc_end0-fft_rtc_fwd_len864_factors_3_6_16_3_wgs_54_tpt_54_halfLds_half_ip_CI_unitstride_sbrr_R2C_dirReg
                                        ; -- End function
	.section	.AMDGPU.csdata,"",@progbits
; Kernel info:
; codeLenInByte = 10560
; NumSgprs: 23
; NumVgprs: 97
; ScratchSize: 0
; MemoryBound: 0
; FloatMode: 240
; IeeeMode: 1
; LDSByteSize: 0 bytes/workgroup (compile time only)
; SGPRBlocks: 2
; VGPRBlocks: 12
; NumSGPRsForWavesPerEU: 23
; NumVGPRsForWavesPerEU: 97
; Occupancy: 12
; WaveLimiterHint : 1
; COMPUTE_PGM_RSRC2:SCRATCH_EN: 0
; COMPUTE_PGM_RSRC2:USER_SGPR: 15
; COMPUTE_PGM_RSRC2:TRAP_HANDLER: 0
; COMPUTE_PGM_RSRC2:TGID_X_EN: 1
; COMPUTE_PGM_RSRC2:TGID_Y_EN: 0
; COMPUTE_PGM_RSRC2:TGID_Z_EN: 0
; COMPUTE_PGM_RSRC2:TIDIG_COMP_CNT: 0
	.text
	.p2alignl 7, 3214868480
	.fill 96, 4, 3214868480
	.type	__hip_cuid_4904dd79a9d962d1,@object ; @__hip_cuid_4904dd79a9d962d1
	.section	.bss,"aw",@nobits
	.globl	__hip_cuid_4904dd79a9d962d1
__hip_cuid_4904dd79a9d962d1:
	.byte	0                               ; 0x0
	.size	__hip_cuid_4904dd79a9d962d1, 1

	.ident	"AMD clang version 19.0.0git (https://github.com/RadeonOpenCompute/llvm-project roc-6.4.0 25133 c7fe45cf4b819c5991fe208aaa96edf142730f1d)"
	.section	".note.GNU-stack","",@progbits
	.addrsig
	.addrsig_sym __hip_cuid_4904dd79a9d962d1
	.amdgpu_metadata
---
amdhsa.kernels:
  - .args:
      - .actual_access:  read_only
        .address_space:  global
        .offset:         0
        .size:           8
        .value_kind:     global_buffer
      - .offset:         8
        .size:           8
        .value_kind:     by_value
      - .actual_access:  read_only
        .address_space:  global
        .offset:         16
        .size:           8
        .value_kind:     global_buffer
      - .actual_access:  read_only
        .address_space:  global
        .offset:         24
        .size:           8
        .value_kind:     global_buffer
      - .offset:         32
        .size:           8
        .value_kind:     by_value
      - .actual_access:  read_only
        .address_space:  global
        .offset:         40
        .size:           8
        .value_kind:     global_buffer
      - .actual_access:  read_only
        .address_space:  global
        .offset:         48
        .size:           8
        .value_kind:     global_buffer
      - .offset:         56
        .size:           4
        .value_kind:     by_value
      - .actual_access:  read_only
        .address_space:  global
        .offset:         64
        .size:           8
        .value_kind:     global_buffer
      - .actual_access:  read_only
        .address_space:  global
        .offset:         72
        .size:           8
        .value_kind:     global_buffer
      - .address_space:  global
        .offset:         80
        .size:           8
        .value_kind:     global_buffer
    .group_segment_fixed_size: 0
    .kernarg_segment_align: 8
    .kernarg_segment_size: 88
    .language:       OpenCL C
    .language_version:
      - 2
      - 0
    .max_flat_workgroup_size: 54
    .name:           fft_rtc_fwd_len864_factors_3_6_16_3_wgs_54_tpt_54_halfLds_half_ip_CI_unitstride_sbrr_R2C_dirReg
    .private_segment_fixed_size: 0
    .sgpr_count:     23
    .sgpr_spill_count: 0
    .symbol:         fft_rtc_fwd_len864_factors_3_6_16_3_wgs_54_tpt_54_halfLds_half_ip_CI_unitstride_sbrr_R2C_dirReg.kd
    .uniform_work_group_size: 1
    .uses_dynamic_stack: false
    .vgpr_count:     97
    .vgpr_spill_count: 0
    .wavefront_size: 32
    .workgroup_processor_mode: 1
amdhsa.target:   amdgcn-amd-amdhsa--gfx1100
amdhsa.version:
  - 1
  - 2
...

	.end_amdgpu_metadata
